;; amdgpu-corpus repo=ROCm/rocFFT kind=compiled arch=gfx906 opt=O3
	.text
	.amdgcn_target "amdgcn-amd-amdhsa--gfx906"
	.amdhsa_code_object_version 6
	.protected	fft_rtc_back_len945_factors_3_3_3_5_7_wgs_63_tpt_63_halfLds_half_op_CI_CI_sbrr_dirReg ; -- Begin function fft_rtc_back_len945_factors_3_3_3_5_7_wgs_63_tpt_63_halfLds_half_op_CI_CI_sbrr_dirReg
	.globl	fft_rtc_back_len945_factors_3_3_3_5_7_wgs_63_tpt_63_halfLds_half_op_CI_CI_sbrr_dirReg
	.p2align	8
	.type	fft_rtc_back_len945_factors_3_3_3_5_7_wgs_63_tpt_63_halfLds_half_op_CI_CI_sbrr_dirReg,@function
fft_rtc_back_len945_factors_3_3_3_5_7_wgs_63_tpt_63_halfLds_half_op_CI_CI_sbrr_dirReg: ; @fft_rtc_back_len945_factors_3_3_3_5_7_wgs_63_tpt_63_halfLds_half_op_CI_CI_sbrr_dirReg
; %bb.0:
	s_load_dwordx4 s[16:19], s[4:5], 0x18
	s_load_dwordx4 s[8:11], s[4:5], 0x0
	;; [unrolled: 1-line block ×3, first 2 shown]
	v_mul_u32_u24_e32 v1, 0x411, v0
	v_mov_b32_e32 v7, 0
	s_waitcnt lgkmcnt(0)
	s_load_dwordx2 s[20:21], s[16:17], 0x0
	s_load_dwordx2 s[2:3], s[18:19], 0x0
	v_cmp_lt_u64_e64 s[0:1], s[10:11], 2
	v_mov_b32_e32 v5, 0
	v_add_u32_sdwa v9, s6, v1 dst_sel:DWORD dst_unused:UNUSED_PAD src0_sel:DWORD src1_sel:WORD_1
	v_mov_b32_e32 v10, v7
	s_and_b64 vcc, exec, s[0:1]
	v_mov_b32_e32 v6, 0
	s_cbranch_vccnz .LBB0_8
; %bb.1:
	s_load_dwordx2 s[0:1], s[4:5], 0x10
	s_add_u32 s6, s18, 8
	s_addc_u32 s7, s19, 0
	s_add_u32 s22, s16, 8
	s_addc_u32 s23, s17, 0
	v_mov_b32_e32 v5, 0
	s_waitcnt lgkmcnt(0)
	s_add_u32 s24, s0, 8
	v_mov_b32_e32 v6, 0
	v_mov_b32_e32 v1, v5
	s_addc_u32 s25, s1, 0
	s_mov_b64 s[26:27], 1
	v_mov_b32_e32 v2, v6
.LBB0_2:                                ; =>This Inner Loop Header: Depth=1
	s_load_dwordx2 s[28:29], s[24:25], 0x0
                                        ; implicit-def: $vgpr3_vgpr4
	s_waitcnt lgkmcnt(0)
	v_or_b32_e32 v8, s29, v10
	v_cmp_ne_u64_e32 vcc, 0, v[7:8]
	s_and_saveexec_b64 s[0:1], vcc
	s_xor_b64 s[30:31], exec, s[0:1]
	s_cbranch_execz .LBB0_4
; %bb.3:                                ;   in Loop: Header=BB0_2 Depth=1
	v_cvt_f32_u32_e32 v3, s28
	v_cvt_f32_u32_e32 v4, s29
	s_sub_u32 s0, 0, s28
	s_subb_u32 s1, 0, s29
	v_mac_f32_e32 v3, 0x4f800000, v4
	v_rcp_f32_e32 v3, v3
	v_mul_f32_e32 v3, 0x5f7ffffc, v3
	v_mul_f32_e32 v4, 0x2f800000, v3
	v_trunc_f32_e32 v4, v4
	v_mac_f32_e32 v3, 0xcf800000, v4
	v_cvt_u32_f32_e32 v4, v4
	v_cvt_u32_f32_e32 v3, v3
	v_mul_lo_u32 v8, s0, v4
	v_mul_hi_u32 v11, s0, v3
	v_mul_lo_u32 v13, s1, v3
	v_mul_lo_u32 v12, s0, v3
	v_add_u32_e32 v8, v11, v8
	v_add_u32_e32 v8, v8, v13
	v_mul_hi_u32 v11, v3, v12
	v_mul_lo_u32 v13, v3, v8
	v_mul_hi_u32 v15, v3, v8
	v_mul_hi_u32 v14, v4, v12
	v_mul_lo_u32 v12, v4, v12
	v_mul_hi_u32 v16, v4, v8
	v_add_co_u32_e32 v11, vcc, v11, v13
	v_addc_co_u32_e32 v13, vcc, 0, v15, vcc
	v_mul_lo_u32 v8, v4, v8
	v_add_co_u32_e32 v11, vcc, v11, v12
	v_addc_co_u32_e32 v11, vcc, v13, v14, vcc
	v_addc_co_u32_e32 v12, vcc, 0, v16, vcc
	v_add_co_u32_e32 v8, vcc, v11, v8
	v_addc_co_u32_e32 v11, vcc, 0, v12, vcc
	v_add_co_u32_e32 v3, vcc, v3, v8
	v_addc_co_u32_e32 v4, vcc, v4, v11, vcc
	v_mul_lo_u32 v8, s0, v4
	v_mul_hi_u32 v11, s0, v3
	v_mul_lo_u32 v12, s1, v3
	v_mul_lo_u32 v13, s0, v3
	v_add_u32_e32 v8, v11, v8
	v_add_u32_e32 v8, v8, v12
	v_mul_lo_u32 v14, v3, v8
	v_mul_hi_u32 v15, v3, v13
	v_mul_hi_u32 v16, v3, v8
	;; [unrolled: 1-line block ×3, first 2 shown]
	v_mul_lo_u32 v13, v4, v13
	v_mul_hi_u32 v11, v4, v8
	v_add_co_u32_e32 v14, vcc, v15, v14
	v_addc_co_u32_e32 v15, vcc, 0, v16, vcc
	v_mul_lo_u32 v8, v4, v8
	v_add_co_u32_e32 v13, vcc, v14, v13
	v_addc_co_u32_e32 v12, vcc, v15, v12, vcc
	v_addc_co_u32_e32 v11, vcc, 0, v11, vcc
	v_add_co_u32_e32 v8, vcc, v12, v8
	v_addc_co_u32_e32 v11, vcc, 0, v11, vcc
	v_add_co_u32_e32 v8, vcc, v3, v8
	v_addc_co_u32_e32 v11, vcc, v4, v11, vcc
	v_mad_u64_u32 v[3:4], s[0:1], v9, v11, 0
	v_mul_hi_u32 v12, v9, v8
	v_add_co_u32_e32 v13, vcc, v12, v3
	v_addc_co_u32_e32 v14, vcc, 0, v4, vcc
	v_mad_u64_u32 v[3:4], s[0:1], v10, v8, 0
	v_mad_u64_u32 v[11:12], s[0:1], v10, v11, 0
	v_add_co_u32_e32 v3, vcc, v13, v3
	v_addc_co_u32_e32 v3, vcc, v14, v4, vcc
	v_addc_co_u32_e32 v4, vcc, 0, v12, vcc
	v_add_co_u32_e32 v8, vcc, v3, v11
	v_addc_co_u32_e32 v11, vcc, 0, v4, vcc
	v_mul_lo_u32 v12, s29, v8
	v_mul_lo_u32 v13, s28, v11
	v_mad_u64_u32 v[3:4], s[0:1], s28, v8, 0
	v_add3_u32 v4, v4, v13, v12
	v_sub_u32_e32 v12, v10, v4
	v_mov_b32_e32 v13, s29
	v_sub_co_u32_e32 v3, vcc, v9, v3
	v_subb_co_u32_e64 v12, s[0:1], v12, v13, vcc
	v_subrev_co_u32_e64 v13, s[0:1], s28, v3
	v_subbrev_co_u32_e64 v12, s[0:1], 0, v12, s[0:1]
	v_cmp_le_u32_e64 s[0:1], s29, v12
	v_cndmask_b32_e64 v14, 0, -1, s[0:1]
	v_cmp_le_u32_e64 s[0:1], s28, v13
	v_cndmask_b32_e64 v13, 0, -1, s[0:1]
	v_cmp_eq_u32_e64 s[0:1], s29, v12
	v_cndmask_b32_e64 v12, v14, v13, s[0:1]
	v_add_co_u32_e64 v13, s[0:1], 2, v8
	v_addc_co_u32_e64 v14, s[0:1], 0, v11, s[0:1]
	v_add_co_u32_e64 v15, s[0:1], 1, v8
	v_addc_co_u32_e64 v16, s[0:1], 0, v11, s[0:1]
	v_subb_co_u32_e32 v4, vcc, v10, v4, vcc
	v_cmp_ne_u32_e64 s[0:1], 0, v12
	v_cmp_le_u32_e32 vcc, s29, v4
	v_cndmask_b32_e64 v12, v16, v14, s[0:1]
	v_cndmask_b32_e64 v14, 0, -1, vcc
	v_cmp_le_u32_e32 vcc, s28, v3
	v_cndmask_b32_e64 v3, 0, -1, vcc
	v_cmp_eq_u32_e32 vcc, s29, v4
	v_cndmask_b32_e32 v3, v14, v3, vcc
	v_cmp_ne_u32_e32 vcc, 0, v3
	v_cndmask_b32_e64 v3, v15, v13, s[0:1]
	v_cndmask_b32_e32 v4, v11, v12, vcc
	v_cndmask_b32_e32 v3, v8, v3, vcc
.LBB0_4:                                ;   in Loop: Header=BB0_2 Depth=1
	s_andn2_saveexec_b64 s[0:1], s[30:31]
	s_cbranch_execz .LBB0_6
; %bb.5:                                ;   in Loop: Header=BB0_2 Depth=1
	v_cvt_f32_u32_e32 v3, s28
	s_sub_i32 s30, 0, s28
	v_rcp_iflag_f32_e32 v3, v3
	v_mul_f32_e32 v3, 0x4f7ffffe, v3
	v_cvt_u32_f32_e32 v3, v3
	v_mul_lo_u32 v4, s30, v3
	v_mul_hi_u32 v4, v3, v4
	v_add_u32_e32 v3, v3, v4
	v_mul_hi_u32 v3, v9, v3
	v_mul_lo_u32 v4, v3, s28
	v_add_u32_e32 v8, 1, v3
	v_sub_u32_e32 v4, v9, v4
	v_subrev_u32_e32 v11, s28, v4
	v_cmp_le_u32_e32 vcc, s28, v4
	v_cndmask_b32_e32 v4, v4, v11, vcc
	v_cndmask_b32_e32 v3, v3, v8, vcc
	v_add_u32_e32 v8, 1, v3
	v_cmp_le_u32_e32 vcc, s28, v4
	v_cndmask_b32_e32 v3, v3, v8, vcc
	v_mov_b32_e32 v4, v7
.LBB0_6:                                ;   in Loop: Header=BB0_2 Depth=1
	s_or_b64 exec, exec, s[0:1]
	v_mul_lo_u32 v8, v4, s28
	v_mul_lo_u32 v13, v3, s29
	v_mad_u64_u32 v[11:12], s[0:1], v3, s28, 0
	s_load_dwordx2 s[0:1], s[22:23], 0x0
	s_load_dwordx2 s[28:29], s[6:7], 0x0
	v_add3_u32 v8, v12, v13, v8
	v_sub_co_u32_e32 v9, vcc, v9, v11
	v_subb_co_u32_e32 v8, vcc, v10, v8, vcc
	s_waitcnt lgkmcnt(0)
	v_mul_lo_u32 v10, s0, v8
	v_mul_lo_u32 v11, s1, v9
	v_mad_u64_u32 v[5:6], s[0:1], s0, v9, v[5:6]
	v_mul_lo_u32 v8, s28, v8
	v_mul_lo_u32 v12, s29, v9
	v_mad_u64_u32 v[1:2], s[0:1], s28, v9, v[1:2]
	s_add_u32 s26, s26, 1
	s_addc_u32 s27, s27, 0
	s_add_u32 s6, s6, 8
	v_add3_u32 v2, v12, v2, v8
	s_addc_u32 s7, s7, 0
	v_mov_b32_e32 v8, s10
	s_add_u32 s22, s22, 8
	v_mov_b32_e32 v9, s11
	s_addc_u32 s23, s23, 0
	v_cmp_ge_u64_e32 vcc, s[26:27], v[8:9]
	s_add_u32 s24, s24, 8
	v_add3_u32 v6, v11, v6, v10
	s_addc_u32 s25, s25, 0
	s_cbranch_vccnz .LBB0_9
; %bb.7:                                ;   in Loop: Header=BB0_2 Depth=1
	v_mov_b32_e32 v10, v4
	v_mov_b32_e32 v9, v3
	s_branch .LBB0_2
.LBB0_8:
	v_mov_b32_e32 v1, v5
	v_mov_b32_e32 v3, v9
	;; [unrolled: 1-line block ×4, first 2 shown]
.LBB0_9:
	s_load_dwordx2 s[0:1], s[4:5], 0x28
	s_lshl_b64 s[10:11], s[10:11], 3
	s_add_u32 s4, s18, s10
	s_addc_u32 s5, s19, s11
                                        ; implicit-def: $vgpr7
                                        ; implicit-def: $vgpr9
                                        ; implicit-def: $vgpr8
                                        ; implicit-def: $vgpr15
                                        ; implicit-def: $vgpr17
	s_waitcnt lgkmcnt(0)
	v_cmp_gt_u64_e32 vcc, s[0:1], v[3:4]
	v_cmp_le_u64_e64 s[0:1], s[0:1], v[3:4]
	s_and_saveexec_b64 s[6:7], s[0:1]
	s_xor_b64 s[0:1], exec, s[6:7]
; %bb.10:
	s_mov_b32 s6, 0x4104105
	v_mul_hi_u32 v5, v0, s6
	v_mul_u32_u24_e32 v5, 63, v5
	v_sub_u32_e32 v7, v0, v5
	v_add_u32_e32 v9, 63, v7
	v_add_u32_e32 v8, 0x7e, v7
	;; [unrolled: 1-line block ×4, first 2 shown]
                                        ; implicit-def: $vgpr0
                                        ; implicit-def: $vgpr5_vgpr6
; %bb.11:
	s_or_saveexec_b64 s[6:7], s[0:1]
                                        ; implicit-def: $vgpr39
                                        ; implicit-def: $vgpr12
                                        ; implicit-def: $vgpr40
                                        ; implicit-def: $vgpr10
                                        ; implicit-def: $vgpr41
                                        ; implicit-def: $vgpr11
                                        ; implicit-def: $vgpr28
                                        ; implicit-def: $vgpr19
                                        ; implicit-def: $vgpr27
                                        ; implicit-def: $vgpr16
                                        ; implicit-def: $vgpr32
                                        ; implicit-def: $vgpr22
                                        ; implicit-def: $vgpr26
                                        ; implicit-def: $vgpr38
                                        ; implicit-def: $vgpr33
                                        ; implicit-def: $vgpr23
                                        ; implicit-def: $vgpr29
                                        ; implicit-def: $vgpr24
                                        ; implicit-def: $vgpr30
                                        ; implicit-def: $vgpr21
                                        ; implicit-def: $vgpr31
                                        ; implicit-def: $vgpr18
                                        ; implicit-def: $vgpr34
                                        ; implicit-def: $vgpr25
                                        ; implicit-def: $vgpr35
                                        ; implicit-def: $vgpr13
                                        ; implicit-def: $vgpr37
                                        ; implicit-def: $vgpr20
                                        ; implicit-def: $vgpr36
                                        ; implicit-def: $vgpr14
	s_xor_b64 exec, exec, s[6:7]
	s_cbranch_execz .LBB0_13
; %bb.12:
	s_add_u32 s0, s16, s10
	s_mov_b32 s10, 0x4104105
	v_mul_hi_u32 v7, v0, s10
	s_addc_u32 s1, s17, s11
	s_load_dwordx2 s[0:1], s[0:1], 0x0
	v_lshlrev_b64 v[5:6], 2, v[5:6]
	v_mul_u32_u24_e32 v7, 63, v7
	v_sub_u32_e32 v7, v0, v7
	v_mad_u64_u32 v[8:9], s[10:11], s20, v7, 0
	s_waitcnt lgkmcnt(0)
	v_mul_lo_u32 v14, s1, v3
	v_mul_lo_u32 v15, s0, v4
	v_mad_u64_u32 v[10:11], s[0:1], s0, v3, 0
	v_mov_b32_e32 v0, v9
	v_mad_u64_u32 v[12:13], s[0:1], s21, v7, v[0:1]
	v_add3_u32 v11, v11, v15, v14
	v_lshlrev_b64 v[10:11], 2, v[10:11]
	v_mov_b32_e32 v9, v12
	v_mov_b32_e32 v0, s13
	v_add_co_u32_e64 v12, s[0:1], s12, v10
	v_add_u32_e32 v13, 0x13b, v7
	v_addc_co_u32_e64 v0, s[0:1], v0, v11, s[0:1]
	v_mad_u64_u32 v[10:11], s[0:1], s20, v13, 0
	v_add_co_u32_e64 v38, s[0:1], v12, v5
	v_addc_co_u32_e64 v39, s[0:1], v0, v6, s[0:1]
	v_mov_b32_e32 v0, v11
	v_lshlrev_b64 v[5:6], 2, v[8:9]
	v_mad_u64_u32 v[8:9], s[0:1], s21, v13, v[0:1]
	v_add_u32_e32 v9, 0x276, v7
	v_mad_u64_u32 v[12:13], s[0:1], s20, v9, 0
	v_add_co_u32_e64 v5, s[0:1], v38, v5
	v_mov_b32_e32 v0, v13
	v_addc_co_u32_e64 v6, s[0:1], v39, v6, s[0:1]
	v_mov_b32_e32 v11, v8
	v_mad_u64_u32 v[8:9], s[0:1], s21, v9, v[0:1]
	v_add_u32_e32 v9, 63, v7
	v_mad_u64_u32 v[14:15], s[0:1], s20, v9, 0
	v_lshlrev_b64 v[10:11], 2, v[10:11]
	v_mov_b32_e32 v13, v8
	v_add_co_u32_e64 v17, s[0:1], v38, v10
	v_add_u32_e32 v8, 0x17a, v7
	v_addc_co_u32_e64 v18, s[0:1], v39, v11, s[0:1]
	v_mov_b32_e32 v0, v15
	v_mad_u64_u32 v[19:20], s[0:1], s20, v8, 0
	v_lshlrev_b64 v[10:11], 2, v[12:13]
	v_mad_u64_u32 v[12:13], s[0:1], s21, v9, v[0:1]
	v_add_co_u32_e64 v21, s[0:1], v38, v10
	v_mov_b32_e32 v0, v20
	v_addc_co_u32_e64 v22, s[0:1], v39, v11, s[0:1]
	v_mov_b32_e32 v15, v12
	v_mad_u64_u32 v[12:13], s[0:1], s21, v8, v[0:1]
	v_add_u32_e32 v8, 0x2b5, v7
	v_lshlrev_b64 v[10:11], 2, v[14:15]
	v_mad_u64_u32 v[13:14], s[0:1], s20, v8, 0
	v_add_co_u32_e64 v23, s[0:1], v38, v10
	v_mov_b32_e32 v0, v14
	v_addc_co_u32_e64 v24, s[0:1], v39, v11, s[0:1]
	v_mad_u64_u32 v[14:15], s[0:1], s21, v8, v[0:1]
	v_add_u32_e32 v8, 0x7e, v7
	v_mad_u64_u32 v[15:16], s[0:1], s20, v8, 0
	v_mov_b32_e32 v20, v12
	v_lshlrev_b64 v[10:11], 2, v[19:20]
	v_mov_b32_e32 v0, v16
	v_add_co_u32_e64 v25, s[0:1], v38, v10
	v_addc_co_u32_e64 v26, s[0:1], v39, v11, s[0:1]
	v_lshlrev_b64 v[10:11], 2, v[13:14]
	v_mad_u64_u32 v[12:13], s[0:1], s21, v8, v[0:1]
	v_add_u32_e32 v19, 0x1b9, v7
	v_mad_u64_u32 v[13:14], s[0:1], s20, v19, 0
	v_add_co_u32_e64 v27, s[0:1], v38, v10
	v_mov_b32_e32 v16, v12
	v_addc_co_u32_e64 v28, s[0:1], v39, v11, s[0:1]
	v_lshlrev_b64 v[10:11], 2, v[15:16]
	v_mov_b32_e32 v0, v14
	v_mad_u64_u32 v[14:15], s[0:1], s21, v19, v[0:1]
	v_add_co_u32_e64 v29, s[0:1], v38, v10
	v_add_u32_e32 v12, 0x2f4, v7
	v_addc_co_u32_e64 v30, s[0:1], v39, v11, s[0:1]
	v_mad_u64_u32 v[31:32], s[0:1], s20, v12, 0
	v_lshlrev_b64 v[10:11], 2, v[13:14]
	v_add_u32_e32 v15, 0xbd, v7
	v_add_co_u32_e64 v33, s[0:1], v38, v10
	v_mov_b32_e32 v0, v32
	v_addc_co_u32_e64 v34, s[0:1], v39, v11, s[0:1]
	v_mad_u64_u32 v[35:36], s[0:1], s21, v12, v[0:1]
	v_mad_u64_u32 v[36:37], s[0:1], s20, v15, 0
	global_load_dword v12, v[5:6], off
	global_load_dword v10, v[17:18], off
	global_load_dword v11, v[21:22], off
	global_load_dword v14, v[23:24], off
	global_load_dword v19, v[25:26], off
	global_load_dword v20, v[27:28], off
	global_load_dword v13, v[29:30], off
	global_load_dword v16, v[33:34], off
	v_add_u32_e32 v23, 0x1f8, v7
	v_mad_u64_u32 v[21:22], s[0:1], s20, v23, 0
	v_mov_b32_e32 v32, v35
	v_mov_b32_e32 v0, v37
	v_lshlrev_b64 v[5:6], 2, v[31:32]
	v_mad_u64_u32 v[17:18], s[0:1], s21, v15, v[0:1]
	v_add_co_u32_e64 v5, s[0:1], v38, v5
	v_mov_b32_e32 v0, v22
	v_addc_co_u32_e64 v6, s[0:1], v39, v6, s[0:1]
	v_mad_u64_u32 v[22:23], s[0:1], s21, v23, v[0:1]
	v_add_u32_e32 v25, 0x333, v7
	v_mov_b32_e32 v37, v17
	v_mad_u64_u32 v[23:24], s[0:1], s20, v25, 0
	v_lshlrev_b64 v[17:18], 2, v[36:37]
	v_lshlrev_b64 v[21:22], 2, v[21:22]
	v_add_co_u32_e64 v26, s[0:1], v38, v17
	v_add_u32_e32 v17, 0xfc, v7
	v_addc_co_u32_e64 v27, s[0:1], v39, v18, s[0:1]
	v_mov_b32_e32 v0, v24
	v_mad_u64_u32 v[28:29], s[0:1], s20, v17, 0
	v_mad_u64_u32 v[24:25], s[0:1], s21, v25, v[0:1]
	v_add_co_u32_e64 v30, s[0:1], v38, v21
	v_mov_b32_e32 v0, v29
	v_addc_co_u32_e64 v31, s[0:1], v39, v22, s[0:1]
	v_lshlrev_b64 v[21:22], 2, v[23:24]
	v_mad_u64_u32 v[23:24], s[0:1], s21, v17, v[0:1]
	v_add_u32_e32 v18, 0x237, v7
	v_mad_u64_u32 v[24:25], s[0:1], s20, v18, 0
	v_add_co_u32_e64 v32, s[0:1], v38, v21
	v_mov_b32_e32 v29, v23
	v_mov_b32_e32 v0, v25
	v_addc_co_u32_e64 v33, s[0:1], v39, v22, s[0:1]
	v_lshlrev_b64 v[21:22], 2, v[28:29]
	v_mad_u64_u32 v[28:29], s[0:1], s21, v18, v[0:1]
	v_add_u32_e32 v18, 0x372, v7
	v_mad_u64_u32 v[34:35], s[0:1], s20, v18, 0
	v_add_co_u32_e64 v36, s[0:1], v38, v21
	v_mov_b32_e32 v25, v28
	v_mov_b32_e32 v0, v35
	v_addc_co_u32_e64 v37, s[0:1], v39, v22, s[0:1]
	v_lshlrev_b64 v[21:22], 2, v[24:25]
	v_mad_u64_u32 v[23:24], s[0:1], s21, v18, v[0:1]
	v_add_co_u32_e64 v28, s[0:1], v38, v21
	v_mov_b32_e32 v35, v23
	v_addc_co_u32_e64 v29, s[0:1], v39, v22, s[0:1]
	v_lshlrev_b64 v[21:22], 2, v[34:35]
	v_add_co_u32_e64 v34, s[0:1], v38, v21
	v_addc_co_u32_e64 v35, s[0:1], v39, v22, s[0:1]
	global_load_dword v22, v[5:6], off
	global_load_dword v38, v[26:27], off
	;; [unrolled: 1-line block ×7, first 2 shown]
	s_waitcnt vmcnt(14)
	v_lshrrev_b32_e32 v39, 16, v12
	s_waitcnt vmcnt(13)
	v_lshrrev_b32_e32 v40, 16, v10
	;; [unrolled: 2-line block ×15, first 2 shown]
.LBB0_13:
	s_or_b64 exec, exec, s[6:7]
	v_add_f16_e32 v5, v10, v11
	v_fma_f16 v5, v5, -0.5, v12
	v_sub_f16_e32 v6, v40, v41
	s_mov_b32 s0, 0xbaee
	s_movk_i32 s1, 0x3aee
	v_add_f16_e32 v0, v12, v10
	v_fma_f16 v12, v6, s0, v5
	v_fma_f16 v5, v6, s1, v5
	v_add_f16_e32 v6, v39, v40
	v_add_f16_e32 v42, v6, v41
	;; [unrolled: 1-line block ×3, first 2 shown]
	v_fma_f16 v6, v6, -0.5, v39
	v_sub_f16_e32 v10, v10, v11
	v_fma_f16 v39, v10, s1, v6
	v_fma_f16 v40, v10, s0, v6
	v_add_f16_e32 v10, v19, v20
	v_add_f16_e32 v0, v0, v11
	v_fma_f16 v10, v10, -0.5, v14
	v_sub_f16_e32 v11, v28, v37
	v_add_f16_e32 v41, v16, v22
	v_add_f16_e32 v6, v19, v14
	v_fma_f16 v14, v11, s0, v10
	v_fma_f16 v10, v11, s1, v10
	v_add_f16_e32 v11, v16, v13
	v_fma_f16 v13, v41, -0.5, v13
	v_sub_f16_e32 v41, v27, v32
	v_add_f16_e32 v44, v23, v25
	v_fma_f16 v43, v41, s0, v13
	v_fma_f16 v13, v41, s1, v13
	v_add_f16_e32 v41, v38, v25
	v_fma_f16 v38, v44, -0.5, v38
	v_sub_f16_e32 v44, v34, v33
	;; [unrolled: 6-line block ×3, first 2 shown]
	v_fma_f16 v47, v46, s0, v18
	v_fma_f16 v18, v46, s1, v18
	v_mad_u32_u24 v46, v7, 6, 0
	s_load_dwordx2 s[4:5], s[4:5], 0x0
	v_add_f16_e32 v6, v20, v6
	ds_write_b16 v46, v0
	ds_write_b16 v46, v12 offset:2
	ds_write_b16 v46, v5 offset:4
	v_mad_i32_i24 v5, v9, 6, 0
	v_add_f16_e32 v11, v22, v11
	ds_write_b16 v5, v6
	ds_write_b16 v5, v14 offset:2
	ds_write_b16 v5, v10 offset:4
	v_mad_i32_i24 v6, v8, 6, 0
	;; [unrolled: 5-line block ×4, first 2 shown]
	v_lshlrev_b32_e32 v0, 2, v7
	ds_write_b16 v38, v44
	ds_write_b16 v38, v47 offset:2
	ds_write_b16 v38, v18 offset:4
	v_sub_u32_e32 v0, v46, v0
	v_lshlrev_b32_e32 v10, 2, v9
	v_lshlrev_b32_e32 v11, 2, v8
	;; [unrolled: 1-line block ×4, first 2 shown]
	s_waitcnt lgkmcnt(0)
	; wave barrier
	s_waitcnt lgkmcnt(0)
	v_sub_u32_e32 v12, v5, v10
	v_sub_u32_e32 v13, v6, v11
	;; [unrolled: 1-line block ×4, first 2 shown]
	ds_read_u16 v41, v0
	ds_read_u16 v44, v0 offset:630
	ds_read_u16 v45, v0 offset:756
	ds_read_u16 v47, v0 offset:882
	ds_read_u16 v48, v0 offset:1008
	ds_read_u16 v49, v0 offset:1512
	ds_read_u16 v50, v0 offset:1638
	ds_read_u16 v51, v14
	ds_read_u16 v52, v18
	ds_read_u16 v53, v0 offset:1386
	ds_read_u16 v54, v0 offset:1260
	;; [unrolled: 1-line block ×3, first 2 shown]
	ds_read_u16 v56, v13
	ds_read_u16 v57, v12
	ds_read_u16 v58, v0 offset:1764
	s_waitcnt lgkmcnt(0)
	; wave barrier
	s_waitcnt lgkmcnt(0)
	ds_write_b16 v46, v42
	ds_write_b16 v46, v39 offset:2
	ds_write_b16 v46, v40 offset:4
	v_add_f16_e32 v39, v28, v36
	v_add_f16_e32 v28, v28, v37
	v_fma_f16 v28, v28, -0.5, v36
	v_sub_f16_e32 v19, v19, v20
	v_fma_f16 v20, v19, s1, v28
	v_fma_f16 v19, v19, s0, v28
	v_add_f16_e32 v28, v27, v35
	v_add_f16_e32 v27, v27, v32
	;; [unrolled: 1-line block ×3, first 2 shown]
	v_fma_f16 v27, v27, -0.5, v35
	v_sub_f16_e32 v16, v16, v22
	v_add_f16_e32 v32, v33, v34
	v_fma_f16 v22, v16, s1, v27
	v_fma_f16 v16, v16, s0, v27
	v_add_f16_e32 v27, v26, v34
	v_fma_f16 v26, v32, -0.5, v26
	v_sub_f16_e32 v23, v25, v23
	v_fma_f16 v25, v23, s1, v26
	v_fma_f16 v23, v23, s0, v26
	v_add_f16_e32 v26, v30, v31
	v_add_f16_e32 v26, v29, v26
	;; [unrolled: 1-line block ×4, first 2 shown]
	v_fma_f16 v29, v29, -0.5, v31
	v_sub_f16_e32 v21, v21, v24
	s_movk_i32 s6, 0xab
	v_add_f16_e32 v27, v33, v27
	v_fma_f16 v24, v21, s1, v29
	v_fma_f16 v21, v21, s0, v29
	ds_write_b16 v5, v39
	ds_write_b16 v5, v20 offset:2
	ds_write_b16 v5, v19 offset:4
	ds_write_b16 v6, v28
	ds_write_b16 v6, v22 offset:2
	ds_write_b16 v6, v16 offset:4
	;; [unrolled: 3-line block ×4, first 2 shown]
	v_mul_lo_u16_sdwa v16, v7, s6 dst_sel:DWORD dst_unused:UNUSED_PAD src0_sel:BYTE_0 src1_sel:DWORD
	v_lshrrev_b16_e32 v29, 9, v16
	v_mul_lo_u16_e32 v16, 3, v29
	v_sub_u16_e32 v30, v7, v16
	v_mov_b32_e32 v31, 3
	v_lshlrev_b32_sdwa v16, v31, v30 dst_sel:DWORD dst_unused:UNUSED_PAD src0_sel:DWORD src1_sel:BYTE_0
	s_waitcnt lgkmcnt(0)
	; wave barrier
	s_waitcnt lgkmcnt(0)
	global_load_dwordx2 v[19:20], v16, s[8:9]
	v_mul_lo_u16_sdwa v16, v9, s6 dst_sel:DWORD dst_unused:UNUSED_PAD src0_sel:BYTE_0 src1_sel:DWORD
	v_lshrrev_b16_e32 v32, 9, v16
	v_mul_lo_u16_e32 v16, 3, v32
	v_sub_u16_e32 v33, v9, v16
	v_lshlrev_b32_sdwa v16, v31, v33 dst_sel:DWORD dst_unused:UNUSED_PAD src0_sel:DWORD src1_sel:BYTE_0
	global_load_dwordx2 v[21:22], v16, s[8:9]
	v_mul_lo_u16_sdwa v16, v8, s6 dst_sel:DWORD dst_unused:UNUSED_PAD src0_sel:BYTE_0 src1_sel:DWORD
	v_lshrrev_b16_e32 v34, 9, v16
	v_mul_lo_u16_e32 v16, 3, v34
	v_sub_u16_e32 v35, v8, v16
	v_lshlrev_b32_sdwa v16, v31, v35 dst_sel:DWORD dst_unused:UNUSED_PAD src0_sel:DWORD src1_sel:BYTE_0
	;; [unrolled: 6-line block ×3, first 2 shown]
	s_mov_b32 s6, 0xaaab
	global_load_dwordx2 v[25:26], v16, s[8:9]
	v_mul_u32_u24_sdwa v16, v17, s6 dst_sel:DWORD dst_unused:UNUSED_PAD src0_sel:WORD_0 src1_sel:DWORD
	v_lshrrev_b32_e32 v38, 17, v16
	v_mul_lo_u16_e32 v16, 3, v38
	v_sub_u16_e32 v39, v17, v16
	v_lshlrev_b32_e32 v16, 3, v39
	global_load_dwordx2 v[27:28], v16, s[8:9]
	ds_read_u16 v16, v0 offset:1386
	ds_read_u16 v40, v0 offset:630
	;; [unrolled: 1-line block ×7, first 2 shown]
	ds_read_u16 v61, v0
	v_mul_u32_u24_e32 v29, 18, v29
	s_mov_b32 s6, 0xe38f
	s_mov_b32 s12, 0xbb9c
	s_movk_i32 s13, 0x3b9c
	s_mov_b32 s10, 0xb8b4
	s_movk_i32 s16, 0x38b4
	s_movk_i32 s11, 0x34f2
	s_waitcnt vmcnt(4) lgkmcnt(6)
	v_mul_f16_sdwa v62, v40, v19 dst_sel:DWORD dst_unused:UNUSED_PAD src0_sel:DWORD src1_sel:WORD_1
	v_fma_f16 v62, v44, v19, v62
	v_mul_f16_sdwa v44, v44, v19 dst_sel:DWORD dst_unused:UNUSED_PAD src0_sel:DWORD src1_sel:WORD_1
	v_fma_f16 v19, v40, v19, -v44
	s_waitcnt lgkmcnt(2)
	v_mul_f16_sdwa v40, v59, v20 dst_sel:DWORD dst_unused:UNUSED_PAD src0_sel:DWORD src1_sel:WORD_1
	v_mul_f16_sdwa v44, v54, v20 dst_sel:DWORD dst_unused:UNUSED_PAD src0_sel:DWORD src1_sel:WORD_1
	v_fma_f16 v40, v54, v20, v40
	v_fma_f16 v20, v59, v20, -v44
	s_waitcnt vmcnt(3)
	v_mul_f16_sdwa v44, v42, v21 dst_sel:DWORD dst_unused:UNUSED_PAD src0_sel:DWORD src1_sel:WORD_1
	v_fma_f16 v44, v45, v21, v44
	v_mul_f16_sdwa v45, v45, v21 dst_sel:DWORD dst_unused:UNUSED_PAD src0_sel:DWORD src1_sel:WORD_1
	v_fma_f16 v21, v42, v21, -v45
	v_mul_f16_sdwa v42, v16, v22 dst_sel:DWORD dst_unused:UNUSED_PAD src0_sel:DWORD src1_sel:WORD_1
	v_mul_f16_sdwa v45, v53, v22 dst_sel:DWORD dst_unused:UNUSED_PAD src0_sel:DWORD src1_sel:WORD_1
	v_fma_f16 v42, v53, v22, v42
	v_fma_f16 v22, v16, v22, -v45
	s_waitcnt vmcnt(2)
	v_mul_f16_sdwa v16, v43, v23 dst_sel:DWORD dst_unused:UNUSED_PAD src0_sel:DWORD src1_sel:WORD_1
	v_fma_f16 v45, v47, v23, v16
	v_mul_f16_sdwa v16, v47, v23 dst_sel:DWORD dst_unused:UNUSED_PAD src0_sel:DWORD src1_sel:WORD_1
	v_fma_f16 v23, v43, v23, -v16
	ds_read_u16 v16, v0 offset:1512
	ds_read_u16 v43, v0 offset:1638
	;; [unrolled: 1-line block ×3, first 2 shown]
	ds_read_u16 v53, v14
	ds_read_u16 v54, v18
	;; [unrolled: 1-line block ×4, first 2 shown]
	s_waitcnt lgkmcnt(6)
	v_mul_f16_sdwa v64, v16, v24 dst_sel:DWORD dst_unused:UNUSED_PAD src0_sel:DWORD src1_sel:WORD_1
	v_fma_f16 v64, v49, v24, v64
	v_mul_f16_sdwa v49, v49, v24 dst_sel:DWORD dst_unused:UNUSED_PAD src0_sel:DWORD src1_sel:WORD_1
	v_fma_f16 v24, v16, v24, -v49
	s_waitcnt vmcnt(1)
	v_mul_f16_sdwa v16, v46, v25 dst_sel:DWORD dst_unused:UNUSED_PAD src0_sel:DWORD src1_sel:WORD_1
	v_fma_f16 v49, v48, v25, v16
	v_mul_f16_sdwa v16, v48, v25 dst_sel:DWORD dst_unused:UNUSED_PAD src0_sel:DWORD src1_sel:WORD_1
	v_fma_f16 v25, v46, v25, -v16
	s_waitcnt lgkmcnt(5)
	v_mul_f16_sdwa v16, v43, v26 dst_sel:DWORD dst_unused:UNUSED_PAD src0_sel:DWORD src1_sel:WORD_1
	v_fma_f16 v46, v50, v26, v16
	v_mul_f16_sdwa v16, v50, v26 dst_sel:DWORD dst_unused:UNUSED_PAD src0_sel:DWORD src1_sel:WORD_1
	v_fma_f16 v26, v43, v26, -v16
	s_waitcnt vmcnt(0)
	v_mul_f16_sdwa v16, v60, v27 dst_sel:DWORD dst_unused:UNUSED_PAD src0_sel:DWORD src1_sel:WORD_1
	v_fma_f16 v43, v55, v27, v16
	v_mul_f16_sdwa v16, v55, v27 dst_sel:DWORD dst_unused:UNUSED_PAD src0_sel:DWORD src1_sel:WORD_1
	v_fma_f16 v27, v60, v27, -v16
	s_waitcnt lgkmcnt(4)
	v_mul_f16_sdwa v16, v47, v28 dst_sel:DWORD dst_unused:UNUSED_PAD src0_sel:DWORD src1_sel:WORD_1
	v_fma_f16 v48, v58, v28, v16
	v_mul_f16_sdwa v16, v58, v28 dst_sel:DWORD dst_unused:UNUSED_PAD src0_sel:DWORD src1_sel:WORD_1
	v_fma_f16 v28, v47, v28, -v16
	v_add_f16_e32 v16, v62, v40
	v_fma_f16 v16, v16, -0.5, v41
	v_sub_f16_e32 v47, v19, v20
	v_fma_f16 v50, v47, s0, v16
	v_fma_f16 v47, v47, s1, v16
	v_add_f16_e32 v16, v61, v19
	v_add_f16_e32 v55, v16, v20
	;; [unrolled: 1-line block ×3, first 2 shown]
	v_fma_f16 v16, v16, -0.5, v61
	v_add_f16_e32 v19, v41, v62
	v_sub_f16_e32 v20, v62, v40
	v_add_f16_e32 v19, v19, v40
	v_fma_f16 v40, v20, s1, v16
	v_fma_f16 v20, v20, s0, v16
	v_add_f16_e32 v16, v44, v42
	v_fma_f16 v16, v16, -0.5, v57
	v_sub_f16_e32 v41, v21, v22
	v_fma_f16 v58, v41, s0, v16
	v_fma_f16 v41, v41, s1, v16
	v_add_f16_e32 v16, v45, v64
	v_fma_f16 v16, v16, -0.5, v56
	v_sub_f16_e32 v60, v23, v24
	;; [unrolled: 5-line block ×4, first 2 shown]
	v_fma_f16 v67, v66, s0, v16
	v_fma_f16 v66, v66, s1, v16
	v_mov_b32_e32 v16, 1
	v_lshlrev_b32_sdwa v30, v16, v30 dst_sel:DWORD dst_unused:UNUSED_PAD src0_sel:DWORD src1_sel:BYTE_0
	v_add3_u32 v29, 0, v29, v30
	s_waitcnt lgkmcnt(0)
	; wave barrier
	s_waitcnt lgkmcnt(0)
	ds_write_b16 v29, v19
	ds_write_b16 v29, v50 offset:6
	ds_write_b16 v29, v47 offset:12
	v_lshlrev_b32_sdwa v19, v16, v33 dst_sel:DWORD dst_unused:UNUSED_PAD src0_sel:DWORD src1_sel:BYTE_0
	v_mul_u32_u24_e32 v30, 18, v32
	v_add3_u32 v19, 0, v30, v19
	v_add_f16_e32 v30, v57, v44
	v_add_f16_e32 v30, v30, v42
	ds_write_b16 v19, v30
	ds_write_b16 v19, v58 offset:6
	ds_write_b16 v19, v41 offset:12
	v_lshlrev_b32_sdwa v30, v16, v35 dst_sel:DWORD dst_unused:UNUSED_PAD src0_sel:DWORD src1_sel:BYTE_0
	v_mul_u32_u24_e32 v32, 18, v34
	v_add3_u32 v30, 0, v32, v30
	v_add_f16_e32 v32, v56, v45
	v_add_f16_e32 v32, v32, v64
	;; [unrolled: 8-line block ×3, first 2 shown]
	ds_write_b16 v32, v33
	ds_write_b16 v32, v65 offset:6
	ds_write_b16 v32, v62 offset:12
	v_lshlrev_b32_e32 v33, 1, v39
	v_mul_u32_u24_e32 v34, 18, v38
	v_add3_u32 v33, 0, v34, v33
	v_add_f16_e32 v34, v52, v43
	v_add_f16_e32 v34, v34, v48
	ds_write_b16 v33, v34
	ds_write_b16 v33, v67 offset:6
	ds_write_b16 v33, v66 offset:12
	s_waitcnt lgkmcnt(0)
	; wave barrier
	s_waitcnt lgkmcnt(0)
	ds_read_u16 v34, v0
	ds_read_u16 v35, v0 offset:630
	ds_read_u16 v36, v0 offset:756
	;; [unrolled: 1-line block ×6, first 2 shown]
	ds_read_u16 v47, v14
	ds_read_u16 v50, v18
	ds_read_u16 v51, v0 offset:1386
	ds_read_u16 v52, v0 offset:1260
	;; [unrolled: 1-line block ×3, first 2 shown]
	ds_read_u16 v57, v13
	ds_read_u16 v58, v12
	ds_read_u16 v60, v0 offset:1764
	s_waitcnt lgkmcnt(0)
	; wave barrier
	s_waitcnt lgkmcnt(0)
	ds_write_b16 v29, v55
	ds_write_b16 v29, v40 offset:6
	ds_write_b16 v29, v20 offset:12
	v_add_f16_e32 v20, v63, v21
	v_add_f16_e32 v21, v21, v22
	;; [unrolled: 1-line block ×3, first 2 shown]
	v_fma_f16 v21, v21, -0.5, v63
	v_sub_f16_e32 v22, v44, v42
	v_fma_f16 v29, v22, s1, v21
	v_fma_f16 v21, v22, s0, v21
	ds_write_b16 v19, v20
	ds_write_b16 v19, v29 offset:6
	ds_write_b16 v19, v21 offset:12
	v_add_f16_e32 v20, v23, v24
	v_fma_f16 v20, v20, -0.5, v59
	v_sub_f16_e32 v21, v45, v64
	v_add_f16_e32 v19, v59, v23
	v_fma_f16 v22, v21, s1, v20
	v_fma_f16 v20, v21, s0, v20
	v_add_f16_e32 v21, v53, v25
	v_add_f16_e32 v23, v25, v26
	;; [unrolled: 1-line block ×4, first 2 shown]
	v_fma_f16 v23, v23, -0.5, v53
	v_sub_f16_e32 v24, v49, v46
	v_add_f16_e32 v26, v27, v28
	v_fma_f16 v25, v24, s1, v23
	v_fma_f16 v23, v24, s0, v23
	v_add_f16_e32 v24, v54, v27
	v_fma_f16 v26, v26, -0.5, v54
	v_sub_f16_e32 v27, v43, v48
	v_add_f16_e32 v24, v24, v28
	v_fma_f16 v28, v27, s1, v26
	v_fma_f16 v26, v27, s0, v26
	ds_write_b16 v30, v19
	ds_write_b16 v30, v22 offset:6
	ds_write_b16 v30, v20 offset:12
	ds_write_b16 v32, v21
	ds_write_b16 v32, v25 offset:6
	ds_write_b16 v32, v23 offset:12
	;; [unrolled: 3-line block ×3, first 2 shown]
	v_mov_b32_e32 v25, 57
	v_mul_lo_u16_sdwa v19, v7, v25 dst_sel:DWORD dst_unused:UNUSED_PAD src0_sel:BYTE_0 src1_sel:DWORD
	v_lshrrev_b16_e32 v29, 9, v19
	v_mul_lo_u16_e32 v19, 9, v29
	v_sub_u16_e32 v30, v7, v19
	v_mul_lo_u16_sdwa v21, v9, v25 dst_sel:DWORD dst_unused:UNUSED_PAD src0_sel:BYTE_0 src1_sel:DWORD
	v_lshlrev_b32_sdwa v19, v31, v30 dst_sel:DWORD dst_unused:UNUSED_PAD src0_sel:DWORD src1_sel:BYTE_0
	v_lshrrev_b16_e32 v32, 9, v21
	s_waitcnt lgkmcnt(0)
	; wave barrier
	s_waitcnt lgkmcnt(0)
	global_load_dwordx2 v[19:20], v19, s[8:9] offset:24
	v_mul_lo_u16_e32 v21, 9, v32
	v_sub_u16_e32 v33, v9, v21
	v_mul_lo_u16_sdwa v23, v8, v25 dst_sel:DWORD dst_unused:UNUSED_PAD src0_sel:BYTE_0 src1_sel:DWORD
	v_lshlrev_b32_sdwa v21, v31, v33 dst_sel:DWORD dst_unused:UNUSED_PAD src0_sel:DWORD src1_sel:BYTE_0
	global_load_dwordx2 v[21:22], v21, s[8:9] offset:24
	v_lshrrev_b16_e32 v40, 9, v23
	v_mul_lo_u16_e32 v23, 9, v40
	v_sub_u16_e32 v42, v8, v23
	v_lshlrev_b32_sdwa v23, v31, v42 dst_sel:DWORD dst_unused:UNUSED_PAD src0_sel:DWORD src1_sel:BYTE_0
	global_load_dwordx2 v[23:24], v23, s[8:9] offset:24
	v_mul_lo_u16_sdwa v25, v15, v25 dst_sel:DWORD dst_unused:UNUSED_PAD src0_sel:BYTE_0 src1_sel:DWORD
	v_lshrrev_b16_e32 v43, 9, v25
	v_mul_lo_u16_e32 v25, 9, v43
	v_sub_u16_e32 v15, v15, v25
	v_mul_u32_u24_sdwa v27, v17, s6 dst_sel:DWORD dst_unused:UNUSED_PAD src0_sel:WORD_0 src1_sel:DWORD
	v_lshlrev_b32_sdwa v25, v31, v15 dst_sel:DWORD dst_unused:UNUSED_PAD src0_sel:DWORD src1_sel:BYTE_0
	global_load_dwordx2 v[25:26], v25, s[8:9] offset:24
	v_lshrrev_b32_e32 v31, 19, v27
	v_mul_lo_u16_e32 v27, 9, v31
	v_sub_u16_e32 v17, v17, v27
	v_lshlrev_b32_e32 v27, 3, v17
	global_load_dwordx2 v[27:28], v27, s[8:9] offset:24
	ds_read_u16 v44, v0 offset:630
	ds_read_u16 v45, v0 offset:756
	;; [unrolled: 1-line block ×7, first 2 shown]
	ds_read_u16 v55, v0
	v_lshlrev_b32_sdwa v30, v16, v30 dst_sel:DWORD dst_unused:UNUSED_PAD src0_sel:DWORD src1_sel:BYTE_0
	v_mul_u32_u24_e32 v29, 54, v29
	v_add3_u32 v29, 0, v29, v30
	v_mul_u32_u24_e32 v30, 54, v32
	v_mul_u32_u24_e32 v32, 54, v40
	v_lshlrev_b32_sdwa v15, v16, v15 dst_sel:DWORD dst_unused:UNUSED_PAD src0_sel:DWORD src1_sel:BYTE_0
	v_mul_u32_u24_e32 v31, 54, v31
	s_waitcnt vmcnt(4) lgkmcnt(7)
	v_mul_f16_sdwa v59, v44, v19 dst_sel:DWORD dst_unused:UNUSED_PAD src0_sel:DWORD src1_sel:WORD_1
	v_fma_f16 v59, v35, v19, v59
	v_mul_f16_sdwa v35, v35, v19 dst_sel:DWORD dst_unused:UNUSED_PAD src0_sel:DWORD src1_sel:WORD_1
	v_fma_f16 v19, v44, v19, -v35
	s_waitcnt lgkmcnt(2)
	v_mul_f16_sdwa v35, v53, v20 dst_sel:DWORD dst_unused:UNUSED_PAD src0_sel:DWORD src1_sel:WORD_1
	v_mul_f16_sdwa v44, v52, v20 dst_sel:DWORD dst_unused:UNUSED_PAD src0_sel:DWORD src1_sel:WORD_1
	v_fma_f16 v35, v52, v20, v35
	v_fma_f16 v20, v53, v20, -v44
	s_waitcnt vmcnt(3)
	v_mul_f16_sdwa v44, v45, v21 dst_sel:DWORD dst_unused:UNUSED_PAD src0_sel:DWORD src1_sel:WORD_1
	v_fma_f16 v44, v36, v21, v44
	v_mul_f16_sdwa v36, v36, v21 dst_sel:DWORD dst_unused:UNUSED_PAD src0_sel:DWORD src1_sel:WORD_1
	v_fma_f16 v21, v45, v21, -v36
	v_mul_f16_sdwa v36, v49, v22 dst_sel:DWORD dst_unused:UNUSED_PAD src0_sel:DWORD src1_sel:WORD_1
	v_mul_f16_sdwa v45, v51, v22 dst_sel:DWORD dst_unused:UNUSED_PAD src0_sel:DWORD src1_sel:WORD_1
	v_fma_f16 v36, v51, v22, v36
	v_fma_f16 v22, v49, v22, -v45
	s_waitcnt vmcnt(2)
	v_mul_f16_sdwa v45, v46, v23 dst_sel:DWORD dst_unused:UNUSED_PAD src0_sel:DWORD src1_sel:WORD_1
	v_fma_f16 v45, v37, v23, v45
	v_mul_f16_sdwa v37, v37, v23 dst_sel:DWORD dst_unused:UNUSED_PAD src0_sel:DWORD src1_sel:WORD_1
	v_fma_f16 v23, v46, v23, -v37
	ds_read_u16 v37, v0 offset:1512
	ds_read_u16 v46, v0 offset:1638
	;; [unrolled: 1-line block ×3, first 2 shown]
	ds_read_u16 v18, v18
	ds_read_u16 v51, v14
	;; [unrolled: 1-line block ×4, first 2 shown]
	s_waitcnt lgkmcnt(6)
	v_mul_f16_sdwa v61, v37, v24 dst_sel:DWORD dst_unused:UNUSED_PAD src0_sel:DWORD src1_sel:WORD_1
	v_fma_f16 v61, v39, v24, v61
	v_mul_f16_sdwa v39, v39, v24 dst_sel:DWORD dst_unused:UNUSED_PAD src0_sel:DWORD src1_sel:WORD_1
	v_fma_f16 v24, v37, v24, -v39
	s_waitcnt vmcnt(1)
	v_mul_f16_sdwa v37, v48, v25 dst_sel:DWORD dst_unused:UNUSED_PAD src0_sel:DWORD src1_sel:WORD_1
	v_fma_f16 v37, v38, v25, v37
	v_mul_f16_sdwa v38, v38, v25 dst_sel:DWORD dst_unused:UNUSED_PAD src0_sel:DWORD src1_sel:WORD_1
	v_fma_f16 v25, v48, v25, -v38
	s_waitcnt lgkmcnt(5)
	v_mul_f16_sdwa v38, v46, v26 dst_sel:DWORD dst_unused:UNUSED_PAD src0_sel:DWORD src1_sel:WORD_1
	v_mul_f16_sdwa v39, v41, v26 dst_sel:DWORD dst_unused:UNUSED_PAD src0_sel:DWORD src1_sel:WORD_1
	v_fma_f16 v38, v41, v26, v38
	v_fma_f16 v26, v46, v26, -v39
	s_waitcnt vmcnt(0)
	v_mul_f16_sdwa v39, v54, v27 dst_sel:DWORD dst_unused:UNUSED_PAD src0_sel:DWORD src1_sel:WORD_1
	v_mul_f16_sdwa v41, v56, v27 dst_sel:DWORD dst_unused:UNUSED_PAD src0_sel:DWORD src1_sel:WORD_1
	v_fma_f16 v39, v56, v27, v39
	v_fma_f16 v27, v54, v27, -v41
	s_waitcnt lgkmcnt(4)
	v_mul_f16_sdwa v41, v49, v28 dst_sel:DWORD dst_unused:UNUSED_PAD src0_sel:DWORD src1_sel:WORD_1
	v_mul_f16_sdwa v46, v60, v28 dst_sel:DWORD dst_unused:UNUSED_PAD src0_sel:DWORD src1_sel:WORD_1
	v_fma_f16 v41, v60, v28, v41
	v_fma_f16 v28, v49, v28, -v46
	v_add_f16_e32 v46, v59, v35
	v_fma_f16 v46, v46, -0.5, v34
	v_sub_f16_e32 v48, v19, v20
	v_fma_f16 v49, v48, s0, v46
	v_fma_f16 v46, v48, s1, v46
	v_add_f16_e32 v48, v55, v19
	v_add_f16_e32 v48, v48, v20
	;; [unrolled: 1-line block ×5, first 2 shown]
	v_fma_f16 v19, v19, -0.5, v55
	v_sub_f16_e32 v34, v59, v35
	s_waitcnt lgkmcnt(0)
	; wave barrier
	s_waitcnt lgkmcnt(0)
	ds_write_b16 v29, v20
	ds_write_b16 v29, v49 offset:18
	ds_write_b16 v29, v46 offset:36
	v_lshlrev_b32_sdwa v20, v16, v33 dst_sel:DWORD dst_unused:UNUSED_PAD src0_sel:DWORD src1_sel:BYTE_0
	v_fma_f16 v35, v34, s1, v19
	v_fma_f16 v19, v34, s0, v19
	v_add_f16_e32 v34, v44, v36
	v_add3_u32 v20, 0, v30, v20
	v_add_f16_e32 v30, v58, v44
	v_fma_f16 v34, v34, -0.5, v58
	v_sub_f16_e32 v54, v21, v22
	v_add_f16_e32 v30, v30, v36
	v_fma_f16 v55, v54, s0, v34
	v_fma_f16 v34, v54, s1, v34
	ds_write_b16 v20, v30
	ds_write_b16 v20, v55 offset:18
	ds_write_b16 v20, v34 offset:36
	v_lshlrev_b32_sdwa v30, v16, v42 dst_sel:DWORD dst_unused:UNUSED_PAD src0_sel:DWORD src1_sel:BYTE_0
	v_add_f16_e32 v54, v45, v61
	v_add3_u32 v30, 0, v32, v30
	v_add_f16_e32 v32, v57, v45
	v_fma_f16 v54, v54, -0.5, v57
	v_sub_f16_e32 v56, v23, v24
	v_add_f16_e32 v32, v32, v61
	v_fma_f16 v59, v56, s0, v54
	v_fma_f16 v54, v56, s1, v54
	v_add_f16_e32 v56, v37, v38
	ds_write_b16 v30, v32
	ds_write_b16 v30, v59 offset:18
	ds_write_b16 v30, v54 offset:36
	v_mul_u32_u24_e32 v32, 54, v43
	v_fma_f16 v56, v56, -0.5, v47
	v_sub_f16_e32 v60, v25, v26
	v_add3_u32 v32, 0, v32, v15
	v_add_f16_e32 v15, v47, v37
	v_fma_f16 v62, v60, s0, v56
	v_fma_f16 v56, v60, s1, v56
	v_add_f16_e32 v60, v39, v41
	v_add_f16_e32 v15, v15, v38
	v_fma_f16 v60, v60, -0.5, v50
	v_sub_f16_e32 v63, v27, v28
	ds_write_b16 v32, v15
	ds_write_b16 v32, v62 offset:18
	ds_write_b16 v32, v56 offset:36
	v_lshlrev_b32_e32 v15, 1, v17
	v_add_f16_e32 v17, v50, v39
	v_fma_f16 v64, v63, s0, v60
	v_fma_f16 v60, v63, s1, v60
	v_add_f16_e32 v17, v17, v41
	v_add3_u32 v31, 0, v31, v15
	ds_write_b16 v31, v17
	ds_write_b16 v31, v64 offset:18
	ds_write_b16 v31, v60 offset:36
	s_waitcnt lgkmcnt(0)
	; wave barrier
	s_waitcnt lgkmcnt(0)
	ds_read_u16 v33, v0
	ds_read_u16 v34, v0 offset:504
	ds_read_u16 v40, v0 offset:1260
	ds_read_u16 v17, v0 offset:1134
	ds_read_u16 v49, v0 offset:1008
	ds_read_u16 v43, v0 offset:882
	ds_read_u16 v42, v0 offset:756
	ds_read_u16 v58, v0 offset:630
	ds_read_u16 v46, v14
	ds_read_u16 v15, v13
	;; [unrolled: 1-line block ×3, first 2 shown]
	ds_read_u16 v59, v0 offset:1764
	ds_read_u16 v47, v0 offset:1638
	;; [unrolled: 1-line block ×4, first 2 shown]
	s_waitcnt lgkmcnt(0)
	; wave barrier
	s_waitcnt lgkmcnt(0)
	ds_write_b16 v29, v48
	ds_write_b16 v29, v35 offset:18
	ds_write_b16 v29, v19 offset:36
	v_add_f16_e32 v19, v53, v21
	v_add_f16_e32 v21, v21, v22
	v_add_f16_e32 v19, v19, v22
	v_fma_f16 v21, v21, -0.5, v53
	v_sub_f16_e32 v22, v44, v36
	v_fma_f16 v29, v22, s1, v21
	v_fma_f16 v21, v22, s0, v21
	v_add_f16_e32 v22, v52, v23
	v_add_f16_e32 v23, v23, v24
	v_add_f16_e32 v22, v22, v24
	v_fma_f16 v23, v23, -0.5, v52
	v_sub_f16_e32 v24, v45, v61
	v_fma_f16 v35, v24, s1, v23
	v_fma_f16 v23, v24, s0, v23
	;; [unrolled: 7-line block ×3, first 2 shown]
	v_add_f16_e32 v26, v18, v27
	v_add_f16_e32 v27, v27, v28
	v_fma_f16 v18, v27, -0.5, v18
	v_sub_f16_e32 v27, v39, v41
	v_add_f16_e32 v26, v26, v28
	v_fma_f16 v28, v27, s1, v18
	v_fma_f16 v18, v27, s0, v18
	ds_write_b16 v20, v19
	ds_write_b16 v20, v29 offset:18
	ds_write_b16 v20, v21 offset:36
	ds_write_b16 v30, v22
	ds_write_b16 v30, v35 offset:18
	ds_write_b16 v30, v23 offset:36
	;; [unrolled: 3-line block ×4, first 2 shown]
	v_mov_b32_e32 v18, 19
	v_mul_lo_u16_sdwa v19, v7, v18 dst_sel:DWORD dst_unused:UNUSED_PAD src0_sel:BYTE_0 src1_sel:DWORD
	v_lshrrev_b16_e32 v35, 9, v19
	v_mul_lo_u16_e32 v19, 27, v35
	v_sub_u16_e32 v36, v7, v19
	v_mov_b32_e32 v19, 4
	v_lshlrev_b32_sdwa v20, v19, v36 dst_sel:DWORD dst_unused:UNUSED_PAD src0_sel:DWORD src1_sel:BYTE_0
	s_waitcnt lgkmcnt(0)
	; wave barrier
	s_waitcnt lgkmcnt(0)
	global_load_dwordx4 v[21:24], v20, s[8:9] offset:96
	v_mul_lo_u16_sdwa v20, v9, v18 dst_sel:DWORD dst_unused:UNUSED_PAD src0_sel:BYTE_0 src1_sel:DWORD
	v_lshrrev_b16_e32 v37, 9, v20
	v_mul_lo_u16_e32 v20, 27, v37
	v_sub_u16_e32 v61, v9, v20
	v_lshlrev_b32_sdwa v20, v19, v61 dst_sel:DWORD dst_unused:UNUSED_PAD src0_sel:DWORD src1_sel:BYTE_0
	global_load_dwordx4 v[25:28], v20, s[8:9] offset:96
	v_mul_lo_u16_sdwa v18, v8, v18 dst_sel:DWORD dst_unused:UNUSED_PAD src0_sel:BYTE_0 src1_sel:DWORD
	v_lshrrev_b16_e32 v63, 9, v18
	v_mul_lo_u16_e32 v18, 27, v63
	v_sub_u16_e32 v64, v8, v18
	v_lshlrev_b32_sdwa v18, v19, v64 dst_sel:DWORD dst_unused:UNUSED_PAD src0_sel:DWORD src1_sel:BYTE_0
	global_load_dwordx4 v[29:32], v18, s[8:9] offset:96
	ds_read_u16 v14, v14
	ds_read_u16 v18, v13
	v_cmp_gt_u32_e64 s[0:1], 9, v7
	s_waitcnt vmcnt(2) lgkmcnt(1)
	v_mul_f16_sdwa v13, v14, v21 dst_sel:DWORD dst_unused:UNUSED_PAD src0_sel:DWORD src1_sel:WORD_1
	v_fma_f16 v45, v46, v21, v13
	v_mul_f16_sdwa v13, v46, v21 dst_sel:DWORD dst_unused:UNUSED_PAD src0_sel:DWORD src1_sel:WORD_1
	v_fma_f16 v21, v14, v21, -v13
	ds_read_u16 v13, v0 offset:756
	ds_read_u16 v14, v0 offset:882
	;; [unrolled: 1-line block ×6, first 2 shown]
	s_waitcnt lgkmcnt(5)
	v_mul_f16_sdwa v39, v13, v22 dst_sel:DWORD dst_unused:UNUSED_PAD src0_sel:DWORD src1_sel:WORD_1
	v_fma_f16 v51, v42, v22, v39
	v_mul_f16_sdwa v39, v42, v22 dst_sel:DWORD dst_unused:UNUSED_PAD src0_sel:DWORD src1_sel:WORD_1
	v_fma_f16 v42, v13, v22, -v39
	s_waitcnt lgkmcnt(1)
	v_mul_f16_sdwa v13, v38, v23 dst_sel:DWORD dst_unused:UNUSED_PAD src0_sel:DWORD src1_sel:WORD_1
	v_fma_f16 v53, v17, v23, v13
	v_mul_f16_sdwa v13, v17, v23 dst_sel:DWORD dst_unused:UNUSED_PAD src0_sel:DWORD src1_sel:WORD_1
	v_fma_f16 v46, v38, v23, -v13
	ds_read_u16 v13, v0 offset:1512
	ds_read_u16 v22, v0 offset:1638
	ds_read_u16 v23, v0 offset:1764
	ds_read_u16 v17, v12
	ds_read_u16 v65, v0 offset:1386
	ds_read_u16 v39, v0 offset:504
	ds_read_u16 v56, v0
	s_waitcnt lgkmcnt(6)
	v_mul_f16_sdwa v38, v13, v24 dst_sel:DWORD dst_unused:UNUSED_PAD src0_sel:DWORD src1_sel:WORD_1
	v_fma_f16 v57, v50, v24, v38
	v_mul_f16_sdwa v38, v50, v24 dst_sel:DWORD dst_unused:UNUSED_PAD src0_sel:DWORD src1_sel:WORD_1
	v_fma_f16 v54, v13, v24, -v38
	s_waitcnt vmcnt(1) lgkmcnt(1)
	v_mul_f16_sdwa v13, v39, v25 dst_sel:DWORD dst_unused:UNUSED_PAD src0_sel:DWORD src1_sel:WORD_1
	v_fma_f16 v48, v34, v25, v13
	v_mul_f16_sdwa v13, v34, v25 dst_sel:DWORD dst_unused:UNUSED_PAD src0_sel:DWORD src1_sel:WORD_1
	v_fma_f16 v38, v39, v25, -v13
	v_mul_f16_sdwa v13, v14, v26 dst_sel:DWORD dst_unused:UNUSED_PAD src0_sel:DWORD src1_sel:WORD_1
	v_fma_f16 v50, v43, v26, v13
	v_mul_f16_sdwa v13, v43, v26 dst_sel:DWORD dst_unused:UNUSED_PAD src0_sel:DWORD src1_sel:WORD_1
	v_fma_f16 v41, v14, v26, -v13
	;; [unrolled: 4-line block ×4, first 2 shown]
	s_waitcnt vmcnt(0)
	v_mul_f16_sdwa v13, v44, v29 dst_sel:DWORD dst_unused:UNUSED_PAD src0_sel:DWORD src1_sel:WORD_1
	v_fma_f16 v39, v58, v29, v13
	v_mul_f16_sdwa v13, v58, v29 dst_sel:DWORD dst_unused:UNUSED_PAD src0_sel:DWORD src1_sel:WORD_1
	v_fma_f16 v19, v44, v29, -v13
	v_mul_f16_sdwa v13, v20, v30 dst_sel:DWORD dst_unused:UNUSED_PAD src0_sel:DWORD src1_sel:WORD_1
	v_fma_f16 v40, v49, v30, v13
	v_mul_f16_sdwa v13, v49, v30 dst_sel:DWORD dst_unused:UNUSED_PAD src0_sel:DWORD src1_sel:WORD_1
	v_fma_f16 v20, v20, v30, -v13
	;; [unrolled: 4-line block ×4, first 2 shown]
	v_sub_f16_e32 v13, v45, v51
	v_sub_f16_e32 v14, v57, v53
	v_add_f16_e32 v13, v13, v14
	v_add_f16_e32 v14, v51, v53
	v_fma_f16 v14, v14, -0.5, v33
	v_sub_f16_e32 v24, v21, v54
	v_fma_f16 v25, v24, s12, v14
	v_sub_f16_e32 v26, v42, v46
	v_fma_f16 v14, v24, s13, v14
	v_fma_f16 v25, v26, s10, v25
	v_fma_f16 v14, v26, s16, v14
	v_fma_f16 v25, v13, s11, v25
	v_fma_f16 v14, v13, s11, v14
	v_sub_f16_e32 v13, v51, v45
	v_sub_f16_e32 v27, v53, v57
	v_add_f16_e32 v13, v13, v27
	v_add_f16_e32 v27, v45, v57
	v_fma_f16 v27, v27, -0.5, v33
	v_fma_f16 v28, v26, s13, v27
	v_fma_f16 v26, v26, s12, v27
	v_fma_f16 v27, v24, s10, v28
	v_fma_f16 v24, v24, s16, v26
	v_fma_f16 v26, v13, s11, v27
	v_fma_f16 v24, v13, s11, v24
	v_sub_f16_e32 v13, v48, v50
	v_sub_f16_e32 v27, v55, v52
	v_add_f16_e32 v13, v13, v27
	v_add_f16_e32 v27, v50, v52
	v_fma_f16 v27, v27, -0.5, v60
	v_sub_f16_e32 v28, v38, v47
	v_fma_f16 v29, v28, s12, v27
	v_sub_f16_e32 v30, v41, v43
	v_fma_f16 v27, v28, s13, v27
	v_fma_f16 v29, v30, s10, v29
	v_fma_f16 v27, v30, s16, v27
	v_fma_f16 v29, v13, s11, v29
	v_fma_f16 v27, v13, s11, v27
	v_sub_f16_e32 v13, v50, v48
	v_sub_f16_e32 v31, v52, v55
	v_add_f16_e32 v13, v13, v31
	v_add_f16_e32 v31, v48, v55
	v_fma_f16 v31, v31, -0.5, v60
	v_fma_f16 v32, v30, s13, v31
	v_fma_f16 v30, v30, s12, v31
	v_fma_f16 v31, v28, s10, v32
	v_fma_f16 v28, v28, s16, v30
	v_fma_f16 v30, v13, s11, v31
	v_fma_f16 v28, v13, s11, v28
	;; [unrolled: 24-line block ×3, first 2 shown]
	v_mul_u32_u24_e32 v32, 0x10e, v35
	v_lshlrev_b32_sdwa v35, v16, v36 dst_sel:DWORD dst_unused:UNUSED_PAD src0_sel:DWORD src1_sel:BYTE_0
	v_add3_u32 v58, 0, v32, v35
	v_add_f16_e32 v32, v33, v45
	v_add_f16_e32 v32, v32, v51
	;; [unrolled: 1-line block ×4, first 2 shown]
	s_waitcnt lgkmcnt(0)
	; wave barrier
	s_waitcnt lgkmcnt(0)
	ds_write_b16 v58, v32
	ds_write_b16 v58, v25 offset:54
	ds_write_b16 v58, v26 offset:108
	;; [unrolled: 1-line block ×4, first 2 shown]
	v_mul_u32_u24_e32 v14, 0x10e, v37
	v_lshlrev_b32_sdwa v24, v16, v61 dst_sel:DWORD dst_unused:UNUSED_PAD src0_sel:DWORD src1_sel:BYTE_0
	v_add3_u32 v59, 0, v14, v24
	v_add_f16_e32 v14, v60, v48
	v_add_f16_e32 v14, v14, v50
	;; [unrolled: 1-line block ×4, first 2 shown]
	ds_write_b16 v59, v14
	ds_write_b16 v59, v29 offset:54
	ds_write_b16 v59, v30 offset:108
	;; [unrolled: 1-line block ×4, first 2 shown]
	v_lshlrev_b32_sdwa v14, v16, v64 dst_sel:DWORD dst_unused:UNUSED_PAD src0_sel:DWORD src1_sel:BYTE_0
	v_mul_u32_u24_e32 v16, 0x10e, v63
	v_add3_u32 v60, 0, v16, v14
	v_add_f16_e32 v14, v15, v39
	v_add_f16_e32 v14, v14, v40
	;; [unrolled: 1-line block ×4, first 2 shown]
	ds_write_b16 v60, v14
	ds_write_b16 v60, v34 offset:54
	ds_write_b16 v60, v62 offset:108
	;; [unrolled: 1-line block ×4, first 2 shown]
	s_waitcnt lgkmcnt(0)
	; wave barrier
	s_waitcnt lgkmcnt(0)
	ds_read_u16 v24, v0
	ds_read_u16 v25, v0 offset:270
	ds_read_u16 v26, v0 offset:1080
	;; [unrolled: 1-line block ×7, first 2 shown]
	ds_read_u16 v31, v12
	ds_read_u16 v36, v0 offset:1746
	ds_read_u16 v30, v0 offset:1620
	;; [unrolled: 1-line block ×5, first 2 shown]
	v_sub_u32_e32 v61, 0, v10
	v_sub_u32_e32 v10, 0, v11
	v_add_u32_e32 v6, v6, v10
                                        ; implicit-def: $vgpr12
                                        ; implicit-def: $vgpr14
                                        ; implicit-def: $vgpr10
                                        ; implicit-def: $vgpr11
                                        ; implicit-def: $vgpr15
                                        ; implicit-def: $vgpr16
	s_and_saveexec_b64 s[6:7], s[0:1]
	s_cbranch_execz .LBB0_15
; %bb.14:
	ds_read_u16 v12, v0 offset:522
	ds_read_u16 v14, v0 offset:792
	;; [unrolled: 1-line block ×5, first 2 shown]
	ds_read_u16 v13, v6
	ds_read_u16 v11, v0 offset:1872
.LBB0_15:
	s_or_b64 exec, exec, s[6:7]
	v_add_f16_e32 v63, v42, v46
	v_fma_f16 v63, v63, -0.5, v56
	v_sub_f16_e32 v45, v45, v57
	v_fma_f16 v57, v45, s13, v63
	v_sub_f16_e32 v51, v51, v53
	v_fma_f16 v53, v51, s16, v57
	v_sub_f16_e32 v57, v21, v42
	v_sub_f16_e32 v64, v54, v46
	v_fma_f16 v63, v45, s12, v63
	v_add_f16_e32 v57, v57, v64
	v_fma_f16 v63, v51, s10, v63
	v_add_f16_e32 v62, v56, v21
	v_fma_f16 v53, v57, s11, v53
	v_fma_f16 v57, v57, s11, v63
	v_add_f16_e32 v63, v21, v54
	v_add_f16_e32 v62, v62, v42
	v_fma_f16 v56, v63, -0.5, v56
	v_add_f16_e32 v62, v62, v46
	v_fma_f16 v63, v51, s12, v56
	v_sub_f16_e32 v21, v42, v21
	v_sub_f16_e32 v42, v46, v54
	v_fma_f16 v46, v51, s13, v56
	v_fma_f16 v63, v45, s16, v63
	;; [unrolled: 1-line block ×3, first 2 shown]
	v_add_f16_e32 v46, v41, v43
	v_fma_f16 v46, v46, -0.5, v17
	v_sub_f16_e32 v48, v48, v55
	v_add_f16_e32 v62, v62, v54
	v_fma_f16 v51, v48, s13, v46
	v_sub_f16_e32 v50, v50, v52
	v_sub_f16_e32 v52, v38, v41
	;; [unrolled: 1-line block ×3, first 2 shown]
	v_fma_f16 v46, v48, s12, v46
	v_fma_f16 v51, v50, s16, v51
	v_add_f16_e32 v52, v52, v54
	v_fma_f16 v46, v50, s10, v46
	v_add_f16_e32 v21, v21, v42
	v_fma_f16 v51, v52, s11, v51
	v_fma_f16 v46, v52, s11, v46
	v_add_f16_e32 v52, v38, v47
	v_fma_f16 v42, v21, s11, v63
	v_fma_f16 v21, v21, s11, v45
	v_add_f16_e32 v45, v17, v38
	v_fma_f16 v17, v52, -0.5, v17
	v_add_f16_e32 v45, v45, v41
	v_fma_f16 v52, v50, s12, v17
	v_sub_f16_e32 v38, v41, v38
	v_sub_f16_e32 v41, v43, v47
	v_fma_f16 v17, v50, s13, v17
	v_fma_f16 v52, v48, s16, v52
	v_add_f16_e32 v38, v38, v41
	v_fma_f16 v17, v48, s10, v17
	v_fma_f16 v41, v38, s11, v52
	;; [unrolled: 1-line block ×3, first 2 shown]
	v_add_f16_e32 v17, v18, v19
	v_add_f16_e32 v17, v17, v20
	v_add_f16_e32 v17, v17, v22
	v_add_f16_e32 v45, v45, v43
	v_add_f16_e32 v43, v17, v23
	v_add_f16_e32 v17, v20, v22
	v_fma_f16 v17, v17, -0.5, v18
	v_sub_f16_e32 v39, v39, v49
	v_add_f16_e32 v45, v45, v47
	v_fma_f16 v47, v39, s13, v17
	v_sub_f16_e32 v40, v40, v44
	v_fma_f16 v44, v40, s16, v47
	v_sub_f16_e32 v47, v19, v20
	v_sub_f16_e32 v48, v23, v22
	v_fma_f16 v17, v39, s12, v17
	v_add_f16_e32 v47, v47, v48
	v_fma_f16 v17, v40, s10, v17
	v_fma_f16 v44, v47, s11, v44
	v_fma_f16 v17, v47, s11, v17
	v_add_f16_e32 v47, v19, v23
	v_fma_f16 v18, v47, -0.5, v18
	v_fma_f16 v47, v40, s12, v18
	v_sub_f16_e32 v19, v20, v19
	v_sub_f16_e32 v20, v22, v23
	v_fma_f16 v18, v40, s13, v18
	v_fma_f16 v47, v39, s16, v47
	v_add_f16_e32 v19, v19, v20
	v_fma_f16 v18, v39, s10, v18
	v_fma_f16 v20, v19, s11, v47
	v_fma_f16 v18, v19, s11, v18
	s_waitcnt lgkmcnt(0)
	; wave barrier
	s_waitcnt lgkmcnt(0)
	ds_write_b16 v58, v62
	ds_write_b16 v58, v53 offset:54
	ds_write_b16 v58, v42 offset:108
	ds_write_b16 v58, v21 offset:162
	ds_write_b16 v58, v57 offset:216
	ds_write_b16 v59, v45
	ds_write_b16 v59, v51 offset:54
	ds_write_b16 v59, v41 offset:108
	ds_write_b16 v59, v38 offset:162
	ds_write_b16 v59, v46 offset:216
	;; [unrolled: 5-line block ×3, first 2 shown]
	s_waitcnt lgkmcnt(0)
	; wave barrier
	s_waitcnt lgkmcnt(0)
	ds_read_u16 v38, v0
	ds_read_u16 v39, v0 offset:270
	v_add_u32_e32 v5, v5, v61
	ds_read_u16 v41, v0 offset:1080
	ds_read_u16 v47, v0 offset:936
	;; [unrolled: 1-line block ×6, first 2 shown]
	ds_read_u16 v45, v5
	ds_read_u16 v50, v0 offset:1746
	ds_read_u16 v44, v0 offset:1620
	;; [unrolled: 1-line block ×5, first 2 shown]
                                        ; implicit-def: $vgpr20
                                        ; implicit-def: $vgpr21
                                        ; implicit-def: $vgpr18
                                        ; implicit-def: $vgpr19
                                        ; implicit-def: $vgpr22
                                        ; implicit-def: $vgpr23
	s_and_saveexec_b64 s[6:7], s[0:1]
	s_cbranch_execz .LBB0_17
; %bb.16:
	ds_read_u16 v20, v0 offset:522
	ds_read_u16 v21, v0 offset:792
	;; [unrolled: 1-line block ×5, first 2 shown]
	ds_read_u16 v17, v6
	ds_read_u16 v19, v0 offset:1872
.LBB0_17:
	s_or_b64 exec, exec, s[6:7]
	s_and_saveexec_b64 s[6:7], vcc
	s_cbranch_execz .LBB0_20
; %bb.18:
	v_mul_i32_i24_e32 v5, 6, v9
	v_mov_b32_e32 v6, 0
	v_lshlrev_b64 v[52:53], 2, v[5:6]
	v_mov_b32_e32 v0, s9
	v_add_co_u32_e32 v56, vcc, s8, v52
	v_addc_co_u32_e32 v57, vcc, v0, v53, vcc
	global_load_dwordx4 v[52:55], v[56:57], off offset:528
	global_load_dwordx2 v[60:61], v[56:57], off offset:544
	v_mul_u32_u24_e32 v0, 6, v7
	v_lshlrev_b32_e32 v0, 2, v0
	global_load_dwordx4 v[56:59], v0, s[8:9] offset:528
	global_load_dwordx2 v[62:63], v0, s[8:9] offset:544
	v_mul_lo_u32 v5, s5, v3
	v_mul_lo_u32 v9, s4, v4
	v_mad_u64_u32 v[3:4], s[4:5], s4, v3, 0
	s_mov_b32 s5, 0xb574
	s_mov_b32 s10, 0xbb00
	v_add3_u32 v4, v4, v9, v5
	s_movk_i32 s11, 0x3574
	s_mov_b32 s4, 0xb70e
	s_movk_i32 s16, 0x3a52
	s_mov_b32 s6, 0xbcab
	s_mov_b32 s12, 0xb9e0
	s_movk_i32 s13, 0x39e0
	s_mov_b32 s17, 0xf2b9d649
	v_lshlrev_b64 v[3:4], 2, v[3:4]
	s_movk_i32 s7, 0x2b26
	s_waitcnt vmcnt(3)
	v_lshrrev_b32_e32 v0, 16, v52
	v_lshrrev_b32_e32 v5, 16, v53
	;; [unrolled: 1-line block ×4, first 2 shown]
	v_mul_f16_e32 v65, v34, v52
	s_waitcnt vmcnt(2)
	v_lshrrev_b32_e32 v66, 16, v60
	v_lshrrev_b32_e32 v67, 16, v61
	v_mul_f16_e32 v68, v36, v61
	v_mul_f16_e32 v70, v32, v54
	;; [unrolled: 1-line block ×5, first 2 shown]
	s_waitcnt lgkmcnt(6)
	v_fma_f16 v65, v48, v0, v65
	s_waitcnt lgkmcnt(4)
	v_fma_f16 v68, v50, v67, v68
	v_fma_f16 v70, v47, v9, v70
	;; [unrolled: 1-line block ×3, first 2 shown]
	s_waitcnt lgkmcnt(2)
	v_fma_f16 v72, v49, v66, v72
	v_mul_f16_e32 v36, v36, v67
	v_mul_f16_e32 v0, v34, v0
	;; [unrolled: 1-line block ×6, first 2 shown]
	s_waitcnt lgkmcnt(0)
	v_fma_f16 v69, v51, v64, v69
	v_fma_f16 v36, v50, v61, -v36
	v_fma_f16 v0, v48, v52, -v0
	;; [unrolled: 1-line block ×6, first 2 shown]
	v_add_f16_e32 v46, v65, v68
	v_add_f16_e32 v48, v71, v72
	v_sub_f16_e32 v33, v65, v68
	v_sub_f16_e32 v35, v69, v70
	;; [unrolled: 1-line block ×3, first 2 shown]
	v_add_f16_e32 v47, v69, v70
	v_add_f16_e32 v51, v0, v36
	;; [unrolled: 1-line block ×5, first 2 shown]
	v_sub_f16_e32 v0, v0, v36
	v_sub_f16_e32 v9, v32, v9
	;; [unrolled: 1-line block ×5, first 2 shown]
	v_add_f16_e32 v35, v35, v37
	v_sub_f16_e32 v54, v46, v47
	v_sub_f16_e32 v55, v47, v48
	v_add_f16_e32 v47, v47, v60
	v_sub_f16_e32 v60, v0, v9
	v_sub_f16_e32 v34, v9, v5
	v_add_f16_e32 v9, v9, v5
	v_add_f16_e32 v35, v33, v35
	v_add_f16_e32 v61, v51, v53
	v_add_f16_e32 v9, v0, v9
	v_sub_f16_e32 v33, v37, v33
	v_sub_f16_e32 v0, v5, v0
	v_mul_f16_e32 v32, 0x3846, v50
	v_sub_f16_e32 v36, v51, v52
	v_sub_f16_e32 v50, v52, v53
	v_add_f16_e32 v52, v52, v61
	v_mul_f16_e32 v34, 0x3846, v34
	v_mul_f16_e32 v37, 0xbb00, v33
	;; [unrolled: 1-line block ×5, first 2 shown]
	v_fma_f16 v65, v49, s5, v32
	v_mul_f16_e32 v66, 0x3a52, v36
	v_mul_f16_e32 v50, 0x2b26, v50
	v_add_f16_e32 v31, v31, v47
	v_add_f16_e32 v45, v45, v52
	v_fma_f16 v67, v60, s5, v34
	v_fma_f16 v37, v49, s11, -v37
	v_sub_f16_e32 v49, v53, v51
	v_sub_f16_e32 v46, v48, v46
	v_fma_f16 v5, v60, s11, -v5
	v_fma_f16 v0, v0, s10, -v34
	v_fma_f16 v54, v54, s16, v55
	v_fma_f16 v47, v47, s6, v31
	;; [unrolled: 1-line block ×4, first 2 shown]
	v_fma_f16 v51, v49, s12, -v66
	v_fma_f16 v48, v46, s12, -v64
	v_fma_f16 v5, v9, s4, v5
	v_fma_f16 v49, v49, s13, -v50
	v_fma_f16 v32, v33, s10, -v32
	v_fma_f16 v0, v9, s4, v0
	v_fma_f16 v9, v46, s13, -v55
	v_fma_f16 v36, v36, s16, v50
	v_add_f16_e32 v54, v54, v47
	v_fma_f16 v37, v35, s4, v37
	v_add_f16_e32 v51, v51, v52
	v_add_f16_e32 v48, v48, v47
	;; [unrolled: 1-line block ×3, first 2 shown]
	v_fma_f16 v32, v35, s4, v32
	v_add_f16_e32 v9, v9, v47
	v_fma_f16 v61, v35, s4, v65
	v_add_f16_e32 v36, v36, v52
	v_sub_f16_e32 v68, v54, v67
	v_add_f16_e32 v53, v37, v51
	v_sub_f16_e32 v60, v48, v5
	v_sub_f16_e32 v33, v49, v32
	v_add_f16_e32 v34, v0, v9
	v_add_f16_e32 v32, v32, v49
	v_sub_f16_e32 v35, v9, v0
	v_sub_f16_e32 v37, v51, v37
	v_add_f16_e32 v46, v5, v48
	v_add_f16_e32 v47, v67, v54
	s_waitcnt vmcnt(1)
	v_lshrrev_b32_e32 v0, 16, v56
	v_lshrrev_b32_e32 v5, 16, v57
	v_mul_f16_e32 v49, v25, v56
	s_waitcnt vmcnt(0)
	v_lshrrev_b32_e32 v50, 16, v62
	v_lshrrev_b32_e32 v51, 16, v63
	v_mul_f16_e32 v67, v27, v57
	v_add_f16_e32 v65, v61, v36
	v_sub_f16_e32 v36, v36, v61
	v_lshrrev_b32_e32 v9, 16, v58
	v_lshrrev_b32_e32 v48, 16, v59
	v_fma_f16 v49, v39, v0, v49
	v_mul_f16_e32 v52, v30, v63
	v_mul_f16_e32 v61, v28, v58
	v_fma_f16 v67, v40, v5, v67
	v_mul_f16_e32 v69, v29, v62
	v_mul_f16_e32 v30, v30, v51
	;; [unrolled: 1-line block ×6, first 2 shown]
	v_fma_f16 v61, v42, v9, v61
	v_fma_f16 v30, v44, v63, -v30
	v_fma_f16 v0, v39, v56, -v0
	v_mul_f16_e32 v9, v28, v9
	v_mul_f16_e32 v26, v26, v48
	v_fma_f16 v29, v43, v62, -v29
	v_fma_f16 v5, v40, v57, -v5
	v_add_f16_e32 v25, v0, v30
	v_fma_f16 v9, v42, v58, -v9
	v_fma_f16 v26, v41, v59, -v26
	v_add_f16_e32 v27, v5, v29
	v_fma_f16 v52, v44, v51, v52
	v_fma_f16 v55, v41, v48, v55
	;; [unrolled: 1-line block ×3, first 2 shown]
	v_add_f16_e32 v28, v26, v9
	v_add_f16_e32 v42, v25, v27
	v_sub_f16_e32 v0, v0, v30
	v_sub_f16_e32 v9, v26, v9
	;; [unrolled: 1-line block ×8, first 2 shown]
	v_add_f16_e32 v28, v28, v42
	v_sub_f16_e32 v26, v0, v9
	v_sub_f16_e32 v29, v9, v5
	v_add_f16_e32 v9, v9, v5
	v_sub_f16_e32 v66, v54, v64
	v_sub_f16_e32 v71, v64, v70
	v_add_f16_e32 v64, v64, v70
	v_mul_f16_e32 v41, 0x3a52, v39
	v_mul_f16_e32 v40, 0x2b26, v40
	v_add_f16_e32 v38, v38, v28
	v_add_f16_e32 v9, v0, v9
	v_sub_f16_e32 v25, v27, v25
	v_sub_f16_e32 v0, v5, v0
	v_mul_f16_e32 v71, 0x3846, v71
	v_add_f16_e32 v64, v54, v64
	v_fma_f16 v28, v28, s6, v38
	v_mul_f16_e32 v29, 0x3846, v29
	v_sub_f16_e32 v54, v70, v54
	v_fma_f16 v27, v25, s12, -v41
	v_mul_f16_e32 v5, 0xbb00, v0
	v_fma_f16 v25, v25, s13, -v40
	v_fma_f16 v39, v39, s16, v40
	v_fma_f16 v30, v26, s5, v29
	v_fma_f16 v5, v26, s11, -v5
	v_add_f16_e32 v26, v25, v28
	v_fma_f16 v25, v54, s10, -v71
	v_add_f16_e32 v39, v39, v28
	v_add_f16_e32 v27, v27, v28
	v_fma_f16 v28, v64, s4, v25
	v_mul_hi_u32 v25, v7, s17
	v_add_f16_e32 v44, v55, v61
	v_add_f16_e32 v50, v67, v69
	;; [unrolled: 1-line block ×3, first 2 shown]
	v_sub_f16_e32 v51, v44, v50
	v_sub_f16_e32 v48, v43, v44
	v_mul_f16_e32 v51, 0x2b26, v51
	v_fma_f16 v0, v0, s10, -v29
	v_mul_f16_e32 v49, 0x3a52, v48
	v_fma_f16 v48, v48, s16, v51
	v_fma_f16 v30, v9, s4, v30
	;; [unrolled: 1-line block ×4, first 2 shown]
	v_lshrrev_b32_e32 v9, 7, v25
	s_movk_i32 s16, 0x87
	v_mul_lo_u32 v9, v9, s16
	v_add_f16_e32 v52, v43, v50
	v_add_f16_e32 v44, v44, v52
	;; [unrolled: 1-line block ×3, first 2 shown]
	v_sub_f16_e32 v43, v50, v43
	v_fma_f16 v24, v44, s6, v52
	v_fma_f16 v49, v43, s12, -v49
	v_fma_f16 v25, v43, s13, -v51
	v_sub_u32_e32 v9, v7, v9
	v_add_f16_e32 v44, v48, v24
	v_add_f16_e32 v49, v49, v24
	;; [unrolled: 1-line block ×3, first 2 shown]
	v_mad_u64_u32 v[24:25], s[18:19], s2, v9, 0
	v_fma_f16 v72, v66, s5, v71
	v_add_f16_e32 v43, v0, v29
	v_sub_f16_e32 v29, v29, v0
	v_mov_b32_e32 v0, v25
	v_fma_f16 v72, v64, s4, v72
	v_sub_f16_e32 v50, v49, v5
	v_sub_f16_e32 v40, v26, v28
	v_add_f16_e32 v28, v28, v26
	v_mad_u64_u32 v[25:26], s[18:19], s3, v9, v[0:1]
	v_add_f16_e32 v49, v5, v49
	v_mov_b32_e32 v0, s15
	v_add_co_u32_e32 v5, vcc, s14, v3
	v_add_f16_e32 v42, v72, v39
	v_sub_f16_e32 v26, v39, v72
	v_addc_co_u32_e32 v4, vcc, v0, v4, vcc
	v_lshlrev_b64 v[0:1], 2, v[1:2]
	v_add_u32_e32 v39, 0x87, v9
	v_mad_u64_u32 v[2:3], s[14:15], s2, v39, 0
	v_add_co_u32_e32 v0, vcc, v5, v0
	v_addc_co_u32_e32 v1, vcc, v4, v1, vcc
	v_lshlrev_b64 v[4:5], 2, v[24:25]
	v_sub_f16_e32 v48, v44, v30
	v_mad_u64_u32 v[24:25], s[14:15], s3, v39, v[3:4]
	v_add_co_u32_e32 v3, vcc, v0, v4
	v_addc_co_u32_e32 v4, vcc, v1, v5, vcc
	v_pack_b32_f16 v5, v52, v38
	global_store_dword v[3:4], v5, off
	v_mov_b32_e32 v3, v24
	v_add_u32_e32 v24, 0x10e, v9
	v_mad_u64_u32 v[4:5], s[14:15], s2, v24, 0
	v_add_f16_e32 v30, v30, v44
	v_add_u32_e32 v38, 0x195, v9
	v_mad_u64_u32 v[24:25], s[14:15], s3, v24, v[5:6]
	v_lshlrev_b64 v[2:3], 2, v[2:3]
	v_pack_b32_f16 v30, v30, v26
	v_mad_u64_u32 v[25:26], s[14:15], s2, v38, 0
	v_add_co_u32_e32 v2, vcc, v0, v2
	v_addc_co_u32_e32 v3, vcc, v1, v3, vcc
	v_mov_b32_e32 v5, v24
	v_mul_f16_e32 v55, 0xbb00, v54
	global_store_dword v[2:3], v30, off
	v_lshlrev_b64 v[2:3], 2, v[4:5]
	v_mov_b32_e32 v4, v26
	v_fma_f16 v55, v66, s11, -v55
	v_mad_u64_u32 v[4:5], s[14:15], s3, v38, v[4:5]
	v_fma_f16 v55, v64, s4, v55
	v_add_f16_e32 v41, v55, v27
	v_sub_f16_e32 v27, v27, v55
	v_add_co_u32_e32 v2, vcc, v0, v2
	v_addc_co_u32_e32 v3, vcc, v1, v3, vcc
	v_pack_b32_f16 v5, v49, v27
	v_add_u32_e32 v24, 0x21c, v9
	global_store_dword v[2:3], v5, off
	v_mov_b32_e32 v26, v4
	v_mad_u64_u32 v[4:5], s[14:15], s2, v24, 0
	v_lshlrev_b64 v[2:3], 2, v[25:26]
	v_pack_b32_f16 v27, v29, v28
	v_mad_u64_u32 v[24:25], s[14:15], s3, v24, v[5:6]
	v_add_u32_e32 v28, 0x2a3, v9
	v_mad_u64_u32 v[25:26], s[14:15], s2, v28, 0
	v_add_co_u32_e32 v2, vcc, v0, v2
	v_addc_co_u32_e32 v3, vcc, v1, v3, vcc
	v_mov_b32_e32 v5, v24
	global_store_dword v[2:3], v27, off
	v_lshlrev_b64 v[2:3], 2, v[4:5]
	v_mov_b32_e32 v4, v26
	v_mad_u64_u32 v[4:5], s[14:15], s3, v28, v[4:5]
	v_add_co_u32_e32 v2, vcc, v0, v2
	v_addc_co_u32_e32 v3, vcc, v1, v3, vcc
	v_pack_b32_f16 v5, v43, v40
	v_mov_b32_e32 v26, v4
	v_add_u32_e32 v24, 63, v7
	global_store_dword v[2:3], v5, off
	v_lshlrev_b64 v[2:3], 2, v[25:26]
	v_mul_hi_u32 v25, v24, s17
	v_add_u32_e32 v26, 0x32a, v9
	v_mad_u64_u32 v[4:5], s[14:15], s2, v26, 0
	v_lshrrev_b32_e32 v25, 7, v25
	v_mul_lo_u32 v9, v25, s16
	s_movk_i32 s14, 0x3b1
	v_add_co_u32_e32 v2, vcc, v0, v2
	v_sub_u32_e32 v9, v24, v9
	v_mad_u64_u32 v[24:25], s[14:15], v25, s14, v[9:10]
	v_mad_u64_u32 v[25:26], s[14:15], s3, v26, v[5:6]
	;; [unrolled: 1-line block ×3, first 2 shown]
	v_addc_co_u32_e32 v3, vcc, v1, v3, vcc
	v_pack_b32_f16 v28, v50, v41
	v_mov_b32_e32 v5, v25
	global_store_dword v[2:3], v28, off
	v_lshlrev_b64 v[2:3], 2, v[4:5]
	v_mov_b32_e32 v4, v27
	v_mad_u64_u32 v[4:5], s[14:15], s3, v24, v[4:5]
	v_add_co_u32_e32 v2, vcc, v0, v2
	v_addc_co_u32_e32 v3, vcc, v1, v3, vcc
	v_pack_b32_f16 v5, v48, v42
	v_add_u32_e32 v9, 0x87, v24
	global_store_dword v[2:3], v5, off
	v_mov_b32_e32 v27, v4
	v_mad_u64_u32 v[4:5], s[14:15], s2, v9, 0
	v_lshlrev_b64 v[2:3], 2, v[26:27]
	v_pack_b32_f16 v28, v31, v45
	v_mad_u64_u32 v[25:26], s[14:15], s3, v9, v[5:6]
	v_add_u32_e32 v9, 0x10e, v24
	v_mad_u64_u32 v[26:27], s[14:15], s2, v9, 0
	v_add_co_u32_e32 v2, vcc, v0, v2
	v_addc_co_u32_e32 v3, vcc, v1, v3, vcc
	v_mov_b32_e32 v5, v25
	global_store_dword v[2:3], v28, off
	v_lshlrev_b64 v[2:3], 2, v[4:5]
	v_mov_b32_e32 v4, v27
	v_mad_u64_u32 v[4:5], s[14:15], s3, v9, v[4:5]
	v_add_co_u32_e32 v2, vcc, v0, v2
	v_addc_co_u32_e32 v3, vcc, v1, v3, vcc
	v_pack_b32_f16 v5, v47, v36
	v_add_u32_e32 v9, 0x195, v24
	global_store_dword v[2:3], v5, off
	v_mov_b32_e32 v27, v4
	v_mad_u64_u32 v[4:5], s[14:15], s2, v9, 0
	v_lshlrev_b64 v[2:3], 2, v[26:27]
	v_pack_b32_f16 v28, v46, v37
	v_mad_u64_u32 v[25:26], s[14:15], s3, v9, v[5:6]
	v_add_u32_e32 v9, 0x21c, v24
	v_mad_u64_u32 v[26:27], s[14:15], s2, v9, 0
	v_add_co_u32_e32 v2, vcc, v0, v2
	v_addc_co_u32_e32 v3, vcc, v1, v3, vcc
	;; [unrolled: 19-line block ×3, first 2 shown]
	v_mov_b32_e32 v5, v25
	global_store_dword v[2:3], v28, off
	v_lshlrev_b64 v[2:3], 2, v[4:5]
	v_mov_b32_e32 v4, v27
	v_mad_u64_u32 v[4:5], s[14:15], s3, v9, v[4:5]
	v_add_co_u32_e32 v2, vcc, v0, v2
	v_addc_co_u32_e32 v3, vcc, v1, v3, vcc
	v_pack_b32_f16 v5, v60, v53
	v_mov_b32_e32 v27, v4
	global_store_dword v[2:3], v5, off
	v_lshlrev_b64 v[2:3], 2, v[26:27]
	v_pack_b32_f16 v4, v68, v65
	v_add_co_u32_e32 v2, vcc, v0, v2
	v_addc_co_u32_e32 v3, vcc, v1, v3, vcc
	global_store_dword v[2:3], v4, off
	v_add_u32_e32 v2, 0x7e, v7
	v_cmp_gt_u32_e32 vcc, s16, v2
	s_and_b64 exec, exec, vcc
	s_cbranch_execz .LBB0_20
; %bb.19:
	v_add_u32_e32 v3, -9, v7
	v_cndmask_b32_e64 v3, v3, v8, s[0:1]
	v_mul_i32_i24_e32 v5, 6, v3
	v_lshlrev_b64 v[3:4], 2, v[5:6]
	v_mov_b32_e32 v5, s9
	v_add_co_u32_e32 v8, vcc, s8, v3
	v_addc_co_u32_e32 v9, vcc, v5, v4, vcc
	global_load_dwordx4 v[3:6], v[8:9], off offset:528
	global_load_dwordx2 v[24:25], v[8:9], off offset:544
	s_waitcnt vmcnt(1)
	v_mul_f16_sdwa v8, v20, v3 dst_sel:DWORD dst_unused:UNUSED_PAD src0_sel:DWORD src1_sel:WORD_1
	v_mul_f16_sdwa v9, v12, v3 dst_sel:DWORD dst_unused:UNUSED_PAD src0_sel:DWORD src1_sel:WORD_1
	;; [unrolled: 1-line block ×5, first 2 shown]
	s_waitcnt vmcnt(0)
	v_mul_f16_sdwa v32, v22, v24 dst_sel:DWORD dst_unused:UNUSED_PAD src0_sel:DWORD src1_sel:WORD_1
	v_mul_f16_sdwa v33, v15, v24 dst_sel:DWORD dst_unused:UNUSED_PAD src0_sel:DWORD src1_sel:WORD_1
	;; [unrolled: 1-line block ×7, first 2 shown]
	v_fma_f16 v8, v12, v3, v8
	v_fma_f16 v3, v20, v3, -v9
	v_fma_f16 v9, v14, v4, v26
	v_fma_f16 v4, v21, v4, -v27
	v_fma_f16 v12, v16, v5, v28
	v_fma_f16 v14, v15, v24, v32
	v_fma_f16 v15, v22, v24, -v33
	v_fma_f16 v11, v11, v25, v34
	v_fma_f16 v16, v19, v25, -v35
	v_fma_f16 v5, v23, v5, -v29
	v_fma_f16 v10, v10, v6, v30
	v_fma_f16 v6, v18, v6, -v31
	v_add_f16_e32 v18, v8, v11
	v_add_f16_e32 v19, v3, v16
	v_sub_f16_e32 v8, v8, v11
	v_sub_f16_e32 v3, v3, v16
	v_add_f16_e32 v11, v9, v14
	v_add_f16_e32 v16, v4, v15
	v_sub_f16_e32 v9, v9, v14
	v_sub_f16_e32 v4, v4, v15
	;; [unrolled: 4-line block ×4, first 2 shown]
	v_sub_f16_e32 v18, v18, v14
	v_sub_f16_e32 v19, v19, v15
	;; [unrolled: 1-line block ×4, first 2 shown]
	v_add_f16_e32 v22, v10, v9
	v_add_f16_e32 v23, v5, v4
	v_sub_f16_e32 v24, v10, v9
	v_sub_f16_e32 v25, v5, v4
	;; [unrolled: 1-line block ×3, first 2 shown]
	v_add_f16_e32 v6, v14, v6
	v_add_f16_e32 v12, v15, v12
	v_sub_f16_e32 v10, v8, v10
	v_sub_f16_e32 v5, v3, v5
	;; [unrolled: 1-line block ×3, first 2 shown]
	v_add_f16_e32 v8, v22, v8
	v_add_f16_e32 v3, v23, v3
	v_mul_f16_e32 v14, 0x3a52, v18
	v_mul_f16_e32 v15, 0x3a52, v19
	;; [unrolled: 1-line block ×7, first 2 shown]
	v_add_f16_e32 v13, v13, v6
	v_add_f16_e32 v17, v17, v12
	v_fma_f16 v11, v11, s7, v14
	v_fma_f16 v16, v16, s7, v15
	v_fma_f16 v18, v20, s13, -v18
	v_fma_f16 v19, v21, s13, -v19
	;; [unrolled: 1-line block ×4, first 2 shown]
	v_fma_f16 v20, v10, s5, v22
	v_fma_f16 v21, v5, s5, v23
	v_fma_f16 v4, v4, s10, -v23
	v_fma_f16 v5, v5, s11, -v25
	v_fma_f16 v6, v6, s6, v13
	v_fma_f16 v12, v12, s6, v17
	v_add_f16_e32 v11, v11, v6
	v_add_f16_e32 v16, v16, v12
	;; [unrolled: 1-line block ×6, first 2 shown]
	v_fma_f16 v14, v8, s4, v20
	v_fma_f16 v15, v3, s4, v21
	;; [unrolled: 1-line block ×4, first 2 shown]
	v_mad_u64_u32 v[3:4], s[0:1], s2, v2, 0
	v_mul_f16_e32 v24, 0xbb00, v9
	v_fma_f16 v9, v9, s10, -v22
	v_fma_f16 v10, v10, s11, -v24
	v_add_f16_e32 v22, v5, v6
	v_sub_f16_e32 v24, v18, v20
	v_add_f16_e32 v18, v20, v18
	v_sub_f16_e32 v20, v6, v5
	v_mad_u64_u32 v[4:5], s[0:1], s3, v2, v[4:5]
	v_add_u32_e32 v6, 0x105, v7
	v_fma_f16 v9, v8, s4, v9
	v_lshlrev_b64 v[2:3], 2, v[3:4]
	v_mad_u64_u32 v[4:5], s[0:1], s2, v6, 0
	v_fma_f16 v8, v8, s4, v10
	v_sub_f16_e32 v23, v12, v8
	v_mad_u64_u32 v[5:6], s[0:1], s3, v6, v[5:6]
	v_add_u32_e32 v6, 0x18c, v7
	v_add_f16_e32 v25, v9, v19
	v_sub_f16_e32 v19, v19, v9
	v_add_f16_e32 v12, v8, v12
	v_mad_u64_u32 v[8:9], s[0:1], s2, v6, 0
	v_add_co_u32_e32 v2, vcc, v0, v2
	v_addc_co_u32_e32 v3, vcc, v1, v3, vcc
	v_pack_b32_f16 v13, v13, v17
	global_store_dword v[2:3], v13, off
	v_lshlrev_b64 v[2:3], 2, v[4:5]
	v_mov_b32_e32 v4, v9
	v_mad_u64_u32 v[4:5], s[0:1], s3, v6, v[4:5]
	v_add_f16_e32 v10, v15, v11
	v_sub_f16_e32 v21, v16, v14
	v_add_co_u32_e32 v2, vcc, v0, v2
	v_addc_co_u32_e32 v3, vcc, v1, v3, vcc
	v_pack_b32_f16 v5, v10, v21
	v_add_u32_e32 v6, 0x213, v7
	global_store_dword v[2:3], v5, off
	v_mov_b32_e32 v9, v4
	v_mad_u64_u32 v[4:5], s[0:1], s2, v6, 0
	v_lshlrev_b64 v[2:3], 2, v[8:9]
	v_pack_b32_f16 v10, v22, v23
	v_mad_u64_u32 v[5:6], s[0:1], s3, v6, v[5:6]
	v_add_u32_e32 v6, 0x29a, v7
	v_mad_u64_u32 v[8:9], s[0:1], s2, v6, 0
	v_add_co_u32_e32 v2, vcc, v0, v2
	v_addc_co_u32_e32 v3, vcc, v1, v3, vcc
	global_store_dword v[2:3], v10, off
	v_lshlrev_b64 v[2:3], 2, v[4:5]
	v_mov_b32_e32 v4, v9
	v_mad_u64_u32 v[4:5], s[0:1], s3, v6, v[4:5]
	v_add_co_u32_e32 v2, vcc, v0, v2
	v_addc_co_u32_e32 v3, vcc, v1, v3, vcc
	v_pack_b32_f16 v5, v24, v25
	v_add_u32_e32 v6, 0x321, v7
	global_store_dword v[2:3], v5, off
	v_mov_b32_e32 v9, v4
	v_mad_u64_u32 v[4:5], s[0:1], s2, v6, 0
	v_lshlrev_b64 v[2:3], 2, v[8:9]
	v_add_u32_e32 v9, 0x3a8, v7
	v_mad_u64_u32 v[5:6], s[0:1], s3, v6, v[5:6]
	v_mad_u64_u32 v[6:7], s[0:1], s2, v9, 0
	v_add_co_u32_e32 v2, vcc, v0, v2
	v_addc_co_u32_e32 v3, vcc, v1, v3, vcc
	v_pack_b32_f16 v8, v18, v19
	global_store_dword v[2:3], v8, off
	v_lshlrev_b64 v[2:3], 2, v[4:5]
	v_mov_b32_e32 v4, v7
	v_mad_u64_u32 v[4:5], s[0:1], s3, v9, v[4:5]
	v_add_co_u32_e32 v2, vcc, v0, v2
	v_addc_co_u32_e32 v3, vcc, v1, v3, vcc
	v_pack_b32_f16 v5, v20, v12
	v_mov_b32_e32 v7, v4
	global_store_dword v[2:3], v5, off
	v_lshlrev_b64 v[2:3], 2, v[6:7]
	v_sub_f16_e32 v11, v11, v15
	v_add_f16_e32 v14, v14, v16
	v_add_co_u32_e32 v0, vcc, v0, v2
	v_addc_co_u32_e32 v1, vcc, v1, v3, vcc
	v_pack_b32_f16 v2, v11, v14
	global_store_dword v[0:1], v2, off
.LBB0_20:
	s_endpgm
	.section	.rodata,"a",@progbits
	.p2align	6, 0x0
	.amdhsa_kernel fft_rtc_back_len945_factors_3_3_3_5_7_wgs_63_tpt_63_halfLds_half_op_CI_CI_sbrr_dirReg
		.amdhsa_group_segment_fixed_size 0
		.amdhsa_private_segment_fixed_size 0
		.amdhsa_kernarg_size 104
		.amdhsa_user_sgpr_count 6
		.amdhsa_user_sgpr_private_segment_buffer 1
		.amdhsa_user_sgpr_dispatch_ptr 0
		.amdhsa_user_sgpr_queue_ptr 0
		.amdhsa_user_sgpr_kernarg_segment_ptr 1
		.amdhsa_user_sgpr_dispatch_id 0
		.amdhsa_user_sgpr_flat_scratch_init 0
		.amdhsa_user_sgpr_private_segment_size 0
		.amdhsa_uses_dynamic_stack 0
		.amdhsa_system_sgpr_private_segment_wavefront_offset 0
		.amdhsa_system_sgpr_workgroup_id_x 1
		.amdhsa_system_sgpr_workgroup_id_y 0
		.amdhsa_system_sgpr_workgroup_id_z 0
		.amdhsa_system_sgpr_workgroup_info 0
		.amdhsa_system_vgpr_workitem_id 0
		.amdhsa_next_free_vgpr 73
		.amdhsa_next_free_sgpr 32
		.amdhsa_reserve_vcc 1
		.amdhsa_reserve_flat_scratch 0
		.amdhsa_float_round_mode_32 0
		.amdhsa_float_round_mode_16_64 0
		.amdhsa_float_denorm_mode_32 3
		.amdhsa_float_denorm_mode_16_64 3
		.amdhsa_dx10_clamp 1
		.amdhsa_ieee_mode 1
		.amdhsa_fp16_overflow 0
		.amdhsa_exception_fp_ieee_invalid_op 0
		.amdhsa_exception_fp_denorm_src 0
		.amdhsa_exception_fp_ieee_div_zero 0
		.amdhsa_exception_fp_ieee_overflow 0
		.amdhsa_exception_fp_ieee_underflow 0
		.amdhsa_exception_fp_ieee_inexact 0
		.amdhsa_exception_int_div_zero 0
	.end_amdhsa_kernel
	.text
.Lfunc_end0:
	.size	fft_rtc_back_len945_factors_3_3_3_5_7_wgs_63_tpt_63_halfLds_half_op_CI_CI_sbrr_dirReg, .Lfunc_end0-fft_rtc_back_len945_factors_3_3_3_5_7_wgs_63_tpt_63_halfLds_half_op_CI_CI_sbrr_dirReg
                                        ; -- End function
	.section	.AMDGPU.csdata,"",@progbits
; Kernel info:
; codeLenInByte = 12268
; NumSgprs: 36
; NumVgprs: 73
; ScratchSize: 0
; MemoryBound: 0
; FloatMode: 240
; IeeeMode: 1
; LDSByteSize: 0 bytes/workgroup (compile time only)
; SGPRBlocks: 4
; VGPRBlocks: 18
; NumSGPRsForWavesPerEU: 36
; NumVGPRsForWavesPerEU: 73
; Occupancy: 3
; WaveLimiterHint : 1
; COMPUTE_PGM_RSRC2:SCRATCH_EN: 0
; COMPUTE_PGM_RSRC2:USER_SGPR: 6
; COMPUTE_PGM_RSRC2:TRAP_HANDLER: 0
; COMPUTE_PGM_RSRC2:TGID_X_EN: 1
; COMPUTE_PGM_RSRC2:TGID_Y_EN: 0
; COMPUTE_PGM_RSRC2:TGID_Z_EN: 0
; COMPUTE_PGM_RSRC2:TIDIG_COMP_CNT: 0
	.type	__hip_cuid_fd6cf1e39940b97f,@object ; @__hip_cuid_fd6cf1e39940b97f
	.section	.bss,"aw",@nobits
	.globl	__hip_cuid_fd6cf1e39940b97f
__hip_cuid_fd6cf1e39940b97f:
	.byte	0                               ; 0x0
	.size	__hip_cuid_fd6cf1e39940b97f, 1

	.ident	"AMD clang version 19.0.0git (https://github.com/RadeonOpenCompute/llvm-project roc-6.4.0 25133 c7fe45cf4b819c5991fe208aaa96edf142730f1d)"
	.section	".note.GNU-stack","",@progbits
	.addrsig
	.addrsig_sym __hip_cuid_fd6cf1e39940b97f
	.amdgpu_metadata
---
amdhsa.kernels:
  - .args:
      - .actual_access:  read_only
        .address_space:  global
        .offset:         0
        .size:           8
        .value_kind:     global_buffer
      - .offset:         8
        .size:           8
        .value_kind:     by_value
      - .actual_access:  read_only
        .address_space:  global
        .offset:         16
        .size:           8
        .value_kind:     global_buffer
      - .actual_access:  read_only
        .address_space:  global
        .offset:         24
        .size:           8
        .value_kind:     global_buffer
      - .actual_access:  read_only
        .address_space:  global
        .offset:         32
        .size:           8
        .value_kind:     global_buffer
      - .offset:         40
        .size:           8
        .value_kind:     by_value
      - .actual_access:  read_only
        .address_space:  global
        .offset:         48
        .size:           8
        .value_kind:     global_buffer
      - .actual_access:  read_only
        .address_space:  global
        .offset:         56
        .size:           8
        .value_kind:     global_buffer
      - .offset:         64
        .size:           4
        .value_kind:     by_value
      - .actual_access:  read_only
        .address_space:  global
        .offset:         72
        .size:           8
        .value_kind:     global_buffer
      - .actual_access:  read_only
        .address_space:  global
        .offset:         80
        .size:           8
        .value_kind:     global_buffer
      - .actual_access:  read_only
        .address_space:  global
        .offset:         88
        .size:           8
        .value_kind:     global_buffer
      - .actual_access:  write_only
        .address_space:  global
        .offset:         96
        .size:           8
        .value_kind:     global_buffer
    .group_segment_fixed_size: 0
    .kernarg_segment_align: 8
    .kernarg_segment_size: 104
    .language:       OpenCL C
    .language_version:
      - 2
      - 0
    .max_flat_workgroup_size: 63
    .name:           fft_rtc_back_len945_factors_3_3_3_5_7_wgs_63_tpt_63_halfLds_half_op_CI_CI_sbrr_dirReg
    .private_segment_fixed_size: 0
    .sgpr_count:     36
    .sgpr_spill_count: 0
    .symbol:         fft_rtc_back_len945_factors_3_3_3_5_7_wgs_63_tpt_63_halfLds_half_op_CI_CI_sbrr_dirReg.kd
    .uniform_work_group_size: 1
    .uses_dynamic_stack: false
    .vgpr_count:     73
    .vgpr_spill_count: 0
    .wavefront_size: 64
amdhsa.target:   amdgcn-amd-amdhsa--gfx906
amdhsa.version:
  - 1
  - 2
...

	.end_amdgpu_metadata
